;; amdgpu-corpus repo=ROCm/aiter kind=harvested arch=n/a opt=n/a

/root/src/amdgpu-assembly/repos/ROCm__aiter/hsa/gfx950/fmoe/silu/fmoe_bf16_blockscaleBf16_g1u1_vs_1tg_silu_16x128.co:	file format elf64-amdgpu

Disassembly of section .text:

0000000000002e00 <_ZN5aiter48fmoe_bf16_blockscaleBf16_g1u1_vs_pf2_silu_16x128E>:
	s_and_b32 s1, s1, 0xffff                                   // 000000002E00: 8601FF01 0000FFFF
	s_load_dwordx2 s[8:9], s[0:1], 0x0                         // 000000002E08: C0060200 00000000
	s_load_dwordx2 s[20:21], s[0:1], 0x10                      // 000000002E10: C0060500 00000010
	s_load_dwordx2 s[24:25], s[0:1], 0x20                      // 000000002E18: C0060600 00000020
	s_load_dwordx2 s[50:51], s[0:1], 0x30                      // 000000002E20: C0060C80 00000030
	s_load_dwordx2 s[12:13], s[0:1], 0x40                      // 000000002E28: C0060300 00000040
	s_load_dwordx2 s[28:29], s[0:1], 0x50                      // 000000002E30: C0060700 00000050
	s_load_dwordx2 s[32:33], s[0:1], 0x60                      // 000000002E38: C0060800 00000060
	s_load_dwordx2 s[16:17], s[0:1], 0x70                      // 000000002E40: C0060400 00000070
	s_load_dwordx2 s[36:37], s[0:1], 0x80                      // 000000002E48: C0060900 00000080
	s_load_dwordx2 s[44:45], s[0:1], 0x90                      // 000000002E50: C0060B00 00000090
	s_load_dwordx2 s[40:41], s[0:1], 0xa0                      // 000000002E58: C0060A00 000000A0
	s_load_dwordx2 s[46:47], s[0:1], 0xb0                      // 000000002E60: C0060B80 000000B0
	s_load_dword s64, s[0:1], 0xc0                             // 000000002E68: C0021000 000000C0
	s_load_dword s65, s[0:1], 0xd0                             // 000000002E70: C0021040 000000D0
	s_load_dword s66, s[0:1], 0xe0                             // 000000002E78: C0021080 000000E0
	s_load_dword s67, s[0:1], 0xf0                             // 000000002E80: C00210C0 000000F0
	s_load_dword s68, s[0:1], 0x100                            // 000000002E88: C0021100 00000100
	s_load_dword s69, s[0:1], 0x110                            // 000000002E90: C0021140 00000110
	s_load_dword s70, s[0:1], 0x120                            // 000000002E98: C0021180 00000120
	s_load_dword s71, s[0:1], 0x130                            // 000000002EA0: C00211C0 00000130
	s_load_dword s72, s[0:1], 0x140                            // 000000002EA8: C0021200 00000140
	s_load_dword s73, s[0:1], 0x150                            // 000000002EB0: C0021240 00000150
	s_load_dword s74, s[0:1], 0x160                            // 000000002EB8: C0021280 00000160
	s_load_dword s75, s[0:1], 0x170                            // 000000002EC0: C00212C0 00000170
	s_load_dword s76, s[0:1], 0x180                            // 000000002EC8: C0021300 00000180
	v_lshrrev_b32_e32 v1, 10, v0                               // 000000002ED0: 2002008A
	v_lshrrev_b32_e32 v2, 10, v1                               // 000000002ED4: 2004028A
	v_and_b32_e32 v2, 0x3ff, v2                                // 000000002ED8: 260404FF 000003FF
	v_and_b32_e32 v1, 0x3ff, v1                                // 000000002EE0: 260202FF 000003FF
	v_and_b32_e32 v0, 0x3ff, v0                                // 000000002EE8: 260000FF 000003FF
	v_lshrrev_b32_e32 v3, 6, v0                                // 000000002EF0: 20060086
	v_and_b32_e32 v0, 63, v0                                   // 000000002EF4: 260000BF
	s_mov_b32 s2, s2                                           // 000000002EF8: BE820002
	s_mov_b32 s3, s3                                           // 000000002EFC: BE830003
	s_mov_b32 s4, s4                                           // 000000002F00: BE840004
	v_readfirstlane_b32 s7, v3                                 // 000000002F04: 7E0E0503
	s_waitcnt lgkmcnt(0)                                       // 000000002F08: BF8CC07F
	s_and_b32 s51, s51, 0xffff                                 // 000000002F0C: 8633FF33 0000FFFF
	s_load_dword s50, s[50:51], 0x0                            // 000000002F14: C0020C99 00000000
	s_and_b32 s45, s45, 0xffff                                 // 000000002F1C: 862DFF2D 0000FFFF
	s_and_b32 s47, s47, 0xffff                                 // 000000002F24: 862FFF2F 0000FFFF
	s_and_b32 s9, s9, 0xffff                                   // 000000002F2C: 8609FF09 0000FFFF
	s_mul_i32 s60, s66, s68                                    // 000000002F34: 923C4442
	s_mul_i32 s61, s66, 4                                      // 000000002F38: 923D8442
	s_mov_b32 s22, s60                                         // 000000002F3C: BE96003C
	s_mov_b32 s26, -16                                         // 000000002F40: BE9A00D0
	s_mov_b32 s14, -16                                         // 000000002F44: BE8E00D0
	s_mov_b32 s42, -16                                         // 000000002F48: BEAA00D0
	s_mov_b32 s30, -16                                         // 000000002F4C: BE9E00D0
	s_mov_b32 s34, -16                                         // 000000002F50: BEA200D0
	s_mov_b32 s38, -16                                         // 000000002F54: BEA600D0
	s_mov_b32 s18, -16                                         // 000000002F58: BE9200D0
	s_mul_i32 s60, s66, s71                                    // 000000002F5C: 923C4742
	s_mov_b32 s10, s60                                         // 000000002F60: BE8A003C
	s_mov_b32 s23, 0x20000                                     // 000000002F64: BE9700FF 00020000
	s_mov_b32 s27, 0x20000                                     // 000000002F6C: BE9B00FF 00020000
	s_mov_b32 s15, 0x20000                                     // 000000002F74: BE8F00FF 00020000
	s_mov_b32 s43, 0x20000                                     // 000000002F7C: BEAB00FF 00020000
	s_mov_b32 s31, 0x20000                                     // 000000002F84: BE9F00FF 00020000
	s_mov_b32 s35, 0x20000                                     // 000000002F8C: BEA300FF 00020000
	s_mov_b32 s39, 0x20000                                     // 000000002F94: BEA700FF 00020000
	s_mov_b32 s19, 0x20000                                     // 000000002F9C: BE9300FF 00020000
	s_mov_b32 s11, 0x20000                                     // 000000002FA4: BE8B00FF 00020000
	s_and_b32 s21, s21, 0xffff                                 // 000000002FAC: 8615FF15 0000FFFF
	s_and_b32 s25, s25, 0xffff                                 // 000000002FB4: 8619FF19 0000FFFF
	s_and_b32 s13, s13, 0xffff                                 // 000000002FBC: 860DFF0D 0000FFFF
	s_and_b32 s41, s41, 0xffff                                 // 000000002FC4: 8629FF29 0000FFFF
	s_and_b32 s29, s29, 0xffff                                 // 000000002FCC: 861DFF1D 0000FFFF
	s_and_b32 s33, s33, 0xffff                                 // 000000002FD4: 8621FF21 0000FFFF
	s_and_b32 s37, s37, 0xffff                                 // 000000002FDC: 8625FF25 0000FFFF
	s_and_b32 s17, s17, 0xffff                                 // 000000002FE4: 8611FF11 0000FFFF
	s_or_b32 s21, s21, 0x40000                                 // 000000002FEC: 8715FF15 00040000
	s_or_b32 s25, s25, 0x40000                                 // 000000002FF4: 8719FF19 00040000
	s_or_b32 s13, s13, 0x40000                                 // 000000002FFC: 870DFF0D 00040000
	s_or_b32 s41, s41, 0x40000                                 // 000000003004: 8729FF29 00040000
	s_or_b32 s29, s29, 0x40000                                 // 00000000300C: 871DFF1D 00040000
	s_or_b32 s33, s33, 0x40000                                 // 000000003014: 8721FF21 00040000
	s_or_b32 s37, s37, 0x40000                                 // 00000000301C: 8725FF25 00040000
	s_or_b32 s17, s17, 0x40000                                 // 000000003024: 8711FF11 00040000
	v_accvgpr_write_b32 a191, 0                                // 00000000302C: D3D940BF 18000080
	v_mov_b32_e32 v159, 0                                      // 000000003034: 7F3E0280
	s_waitcnt lgkmcnt(0)                                       // 000000003038: BF8CC07F
	s_mul_i32 s60, s3, 16                                      // 00000000303C: 923C9003
	s_cmp_lt_i32 s60, s50                                      // 000000003040: BF04323C
	s_cbranch_scc0 label_1416                                  // 000000003044: BF841384
	s_lshr_b32 s60, s7, 1                                      // 000000003048: 8F3C8107
	s_lshl_b32 s60, s60, 3                                     // 00000000304C: 8E3C833C
	s_and_b32 s61, s7, 1                                       // 000000003050: 863D8107
	s_lshl_b32 s61, s61, 1                                     // 000000003054: 8E3D813D
	s_or_b32 s60, s60, s61                                     // 000000003058: 873C3D3C
	v_lshrrev_b32_e32 v46, 3, v0                               // 00000000305C: 205C0083
	v_and_b32_e32 v47, 2, v46                                  // 000000003060: 265E5C82
	v_lshlrev_b32_e32 v47, 1, v47                              // 000000003064: 245E5E81
	v_and_b32_e32 v48, 1, v46                                  // 000000003068: 26605C81
	v_or_b32_e32 v47, v47, v48                                 // 00000000306C: 285E612F
	v_add_u32_e32 v47, s60, v47                                // 000000003070: 685E5E3C
	v_and_b32_e32 v48, 3, v0                                   // 000000003074: 26600083
	v_lshlrev_b32_e32 v48, 4, v48                              // 000000003078: 24606084
	v_add_u32_e32 v47, v47, v48                                // 00000000307C: 685E612F
	v_lshrrev_b32_e32 v46, 5, v0                               // 000000003080: 205C0085
	v_lshlrev_b32_e32 v46, 8, v46                              // 000000003084: 245C5C88
	v_lshlrev_b32_e32 v47, 2, v47                              // 000000003088: 245E5E82
	v_add_u32_e32 v33, v46, v47                                // 00000000308C: 68425F2E
	s_mov_b32 s80, 0                                           // 000000003090: BED00080
	s_mov_b32 s81, s64                                         // 000000003094: BED10040
	s_mul_i32 s60, s3, 4                                       // 000000003098: 923C8403
	s_add_u32 s46, s60, s46                                    // 00000000309C: 802E2E3C
	s_addc_u32 s47, 0, s47                                     // 0000000030A0: 822F2F80
	s_load_dword s5, s[46:47], 0x0                             // 0000000030A4: C0020157 00000000
	s_mul_i32 s60, s3, 16                                      // 0000000030AC: 923C9003
	s_mul_i32 s60, 4, s60                                      // 0000000030B0: 923C3C84
	v_and_b32_e32 v46, 15, v0                                  // 0000000030B4: 265C008F
	v_lshlrev_b32_e32 v46, 2, v46                              // 0000000030B8: 245C5C82
	v_add_u32_e32 v46, s60, v46                                // 0000000030BC: 685C5C3C
	v_mov_b32_e32 v47, 0                                       // 0000000030C0: 7E5E0280
	global_load_dword v7, v46, s[44:45]                        // 0000000030C4: DC508000 072C002E
	s_mul_i32 s60, s3, 16                                      // 0000000030CC: 923C9003
	s_lshr_b32 s61, s7, 1                                      // 0000000030D0: 8F3D8107
	s_mul_i32 s61, s61, 8                                      // 0000000030D4: 923D883D
	s_add_u32 s60, s61, s60                                    // 0000000030D8: 803C3C3D
	s_and_b32 s61, s7, 1                                       // 0000000030DC: 863D8107
	s_mul_i32 s61, s61, 2                                      // 0000000030E0: 923D823D
	s_add_u32 s60, s61, s60                                    // 0000000030E4: 803C3C3D
	s_mul_i32 s60, 4, s60                                      // 0000000030E8: 923C3C84
	s_add_u32 s44, s60, s44                                    // 0000000030EC: 802C2C3C
	s_addc_u32 s45, 0, s45                                     // 0000000030F0: 822D2D80
	s_load_dword s82, s[44:45], 0x0                            // 0000000030F4: C0021496 00000000
	s_load_dword s83, s[44:45], 0x4                            // 0000000030FC: C00214D6 00000004
	s_load_dword s84, s[44:45], 0x10                           // 000000003104: C0021516 00000010
	s_load_dword s85, s[44:45], 0x14                           // 00000000310C: C0021556 00000014
	s_waitcnt lgkmcnt(0)                                       // 000000003114: BF8CC07F
	s_and_b32 s82, s82, 0xffffff                               // 000000003118: 8652FF52 00FFFFFF
	s_mul_i32 s62, s82, s68                                    // 000000003120: 923E4452
	s_lshl_b32 s60, 0xff, 0                                    // 000000003124: 8E3C80FF 000000FF
	s_mov_b32 s61, 0                                           // 00000000312C: BEBD0080
	s_lshl_b32 s61, 0xff, 0                                    // 000000003130: 8E3D80FF 000000FF
	s_mov_b64 exec, s[60:61]                                   // 000000003138: BEFE013C
	v_mov_b32_e32 v34, s62                                     // 00000000313C: 7E44023E
	s_and_b32 s83, s83, 0xffffff                               // 000000003140: 8653FF53 00FFFFFF
	s_mul_i32 s62, s83, s68                                    // 000000003148: 923E4453
	s_lshl_b32 s60, 0xff, 8                                    // 00000000314C: 8E3C88FF 000000FF
	s_lshl_b32 s61, 0xff, 8                                    // 000000003154: 8E3D88FF 000000FF
	s_mov_b64 exec, s[60:61]                                   // 00000000315C: BEFE013C
	v_mov_b32_e32 v34, s62                                     // 000000003160: 7E44023E
	s_and_b32 s84, s84, 0xffffff                               // 000000003164: 8654FF54 00FFFFFF
	s_mul_i32 s62, s84, s68                                    // 00000000316C: 923E4454
	s_lshl_b32 s60, 0xff, 16                                   // 000000003170: 8E3C90FF 000000FF
	s_lshl_b32 s61, 0xff, 16                                   // 000000003178: 8E3D90FF 000000FF
	s_mov_b64 exec, s[60:61]                                   // 000000003180: BEFE013C
	v_mov_b32_e32 v34, s62                                     // 000000003184: 7E44023E
	s_and_b32 s85, s85, 0xffffff                               // 000000003188: 8655FF55 00FFFFFF
	s_mul_i32 s62, s85, s68                                    // 000000003190: 923E4455
	s_lshl_b32 s60, 0xff, 24                                   // 000000003194: 8E3C98FF 000000FF
	s_lshl_b32 s61, 0xff, 24                                   // 00000000319C: 8E3D98FF 000000FF
	s_mov_b64 exec, s[60:61]                                   // 0000000031A4: BEFE013C
	v_mov_b32_e32 v34, s62                                     // 0000000031A8: 7E44023E
	s_mov_b32 s60, -1                                          // 0000000031AC: BEBC00C1
	s_mov_b32 s61, -1                                          // 0000000031B0: BEBD00C1
	s_mov_b64 exec, s[60:61]                                   // 0000000031B4: BEFE013C
	v_and_b32_e64 v46, v0, 7                                   // 0000000031B8: D113002E 00010F00
	v_lshlrev_b32_e32 v46, 5, v46                              // 0000000031C0: 245C5C85
	v_add_u32_e32 v34, v34, v46                                // 0000000031C4: 68445D22
	s_mov_b32 s62, 0x100                                       // 0000000031C8: BEBE00FF 00000100
	s_mov_b32 s60, 0                                           // 0000000031D0: BEBC0080
	s_mov_b32 s61, -1                                          // 0000000031D4: BEBD00C1
	s_mov_b64 exec, s[60:61]                                   // 0000000031D8: BEFE013C
	v_add_u32_e64 v34, v34, s62                                // 0000000031DC: D1340022 00007D22
	s_mov_b64 exec, -1                                         // 0000000031E4: BEFE01C1
	v_lshlrev_b32_e32 v46, 2, v0                               // 0000000031E8: 245C0082
	s_mul_i32 s60, s82, s71                                    // 0000000031EC: 923C4752
	v_add_u32_e64 v80, v46, s60                                // 0000000031F0: D1340050 0000792E
	v_mov_b32_e32 v81, 0                                       // 0000000031F8: 7EA20280
	s_mul_i32 s60, s83, s71                                    // 0000000031FC: 923C4753
	v_add_u32_e64 v82, v46, s60                                // 000000003200: D1340052 0000792E
	v_mov_b32_e32 v83, 0                                       // 000000003208: 7EA60280
	s_mul_i32 s60, s84, s71                                    // 00000000320C: 923C4754
	v_add_u32_e64 v84, v46, s60                                // 000000003210: D1340054 0000792E
	v_mov_b32_e32 v85, 0                                       // 000000003218: 7EAA0280
	s_mul_i32 s60, s85, s71                                    // 00000000321C: 923C4755
	v_add_u32_e64 v86, v46, s60                                // 000000003220: D1340056 0000792E
	v_mov_b32_e32 v87, 0                                       // 000000003228: 7EAE0280
	s_mul_i32 s60, s7, 0x420                                   // 00000000322C: 923CFF07 00000420
	s_add_u32 s50, 0, s60                                      // 000000003234: 80323C80
	s_add_u32 s51, 0x1500, s50                                 // 000000003238: 803332FF 00001500
	s_add_u32 s52, 0x1500, s51                                 // 000000003240: 803433FF 00001500
	v_and_b32_e32 v46, 15, v0                                  // 000000003248: 265C008F
	v_lshrrev_b32_e32 v47, 3, v46                              // 00000000324C: 205E5C83
	v_mul_lo_u32 v47, 2, v47                                   // 000000003250: D285002F 00025E82
	v_and_b32_e32 v46, 3, v0                                   // 000000003258: 265C0083
	v_lshrrev_b32_e32 v48, 1, v46                              // 00000000325C: 20605C81
	v_add_u32_e32 v46, v47, v48                                // 000000003260: 685C612F
	v_mul_i32_i24_e32 v2, 0x420, v46                           // 000000003264: 0C045CFF 00000420
	v_and_b32_e32 v46, 7, v0                                   // 00000000326C: 265C0087
	v_lshrrev_b32_e32 v47, 2, v46                              // 000000003270: 205E5C82
	v_mul_i32_i24_e32 v47, 0x100, v47                          // 000000003274: 0C5E5EFF 00000100
	v_and_b32_e32 v46, 1, v0                                   // 00000000327C: 265C0081
	v_mul_i32_i24_e32 v48, 0x80, v46                           // 000000003280: 0C605CFF 00000080
	v_add_u32_e32 v2, v47, v2                                  // 000000003288: 6804052F
	v_add_u32_e32 v2, v48, v2                                  // 00000000328C: 68040530
	v_lshrrev_b32_e32 v46, 4, v0                               // 000000003290: 205C0084
	v_mul_lo_u32 v46, 16, v46                                  // 000000003294: D285002E 00025C90
	v_add_u32_e32 v2, v46, v2                                  // 00000000329C: 6804052E
	s_mul_i32 s60, s2, 0x80                                    // 0000000032A0: 923CFF02 00000080
	s_mul_i32 s60, s60, s69                                    // 0000000032A8: 923C453C
	s_mul_i32 s61, s5, s72                                     // 0000000032AC: 923D4805
	s_add_u32 s60, s61, s60                                    // 0000000032B0: 803C3C3D
	s_add_u32 s24, s60, s24                                    // 0000000032B4: 8018183C
	s_addc_u32 s25, 0, s25                                     // 0000000032B8: 82191980
	s_mul_i32 s60, s7, 16                                      // 0000000032BC: 923C9007
	s_mul_i32 s60, s60, s69                                    // 0000000032C0: 923C453C
	v_lshlrev_b32_e32 v36, 4, v0                               // 0000000032C4: 24480084
	v_add_u32_e32 v36, s60, v36                                // 0000000032C8: 6848483C
	s_mul_i32 s60, 64, s69                                     // 0000000032CC: 923C45C0
	v_add_u32_e32 v37, s60, v36                                // 0000000032D0: 684A483C
	s_mov_b32 s92, s24                                         // 0000000032D4: BEDC0018
	s_mov_b32 s93, s25                                         // 0000000032D8: BEDD0019
	s_mov_b32 s94, s26                                         // 0000000032DC: BEDE001A
	s_mov_b32 s95, s27                                         // 0000000032E0: BEDF001B
	s_mul_i32 s60, s69, s65                                    // 0000000032E4: 923C4145
	s_add_u32 s92, s60, s92                                    // 0000000032E8: 805C5C3C
	s_addc_u32 s93, 0, s93                                     // 0000000032EC: 825D5D80
	s_mul_i32 s60, s2, 0x800                                   // 0000000032F0: 923CFF02 00000800
	s_mul_i32 s61, s5, s73                                     // 0000000032F8: 923D4905
	s_add_u32 s60, s61, s60                                    // 0000000032FC: 803C3C3D
	s_add_u32 s12, s60, s12                                    // 000000003300: 800C0C3C
	s_addc_u32 s13, 0, s13                                     // 000000003304: 820D0D80
	s_mul_i32 s60, s7, 16                                      // 000000003308: 923C9007
	s_mul_i32 s60, s60, s70                                    // 00000000330C: 923C463C
	v_lshlrev_b32_e32 v38, 4, v0                               // 000000003310: 244C0084
	v_add_u32_e32 v38, s60, v38                                // 000000003314: 684C4C3C
	s_mul_i32 s60, 64, s70                                     // 000000003318: 923C46C0
	v_add_u32_e32 v39, s60, v38                                // 00000000331C: 684E4C3C
	v_add_u32_e32 v40, s60, v39                                // 000000003320: 68504E3C
	v_add_u32_e32 v41, s60, v40                                // 000000003324: 6852503C
	s_mul_i32 s60, s70, 0x100                                  // 000000003328: 923CFF46 00000100
	s_mov_b32 s78, 0x800                                       // 000000003330: BECE00FF 00000800
	s_mul_i32 s61, s78, 0                                      // 000000003338: 923D804E
	s_sub_u32 s56, s60, s61                                    // 00000000333C: 80B83D3C
	s_mul_i32 s60, s3, 16                                      // 000000003340: 923C9003
	s_mul_i32 s60, 4, s60                                      // 000000003344: 923C3C84
	s_add_u32 s40, s60, s40                                    // 000000003348: 8028283C
	s_addc_u32 s41, 0, s41                                     // 00000000334C: 82292980
	v_and_b32_e32 v46, 15, v0                                  // 000000003350: 265C008F
	v_lshlrev_b32_e32 v9, 2, v46                               // 000000003354: 24125C82
	v_add_u32_e32 v10, 64, v9                                  // 000000003358: 681412C0
	s_lshr_b32 s60, s64, 7                                     // 00000000335C: 8F3C8740
	s_mul_i32 s61, s60, 4                                      // 000000003360: 923D843C
	v_and_b32_e64 v11, v0, 0                                   // 000000003364: D113000B 00010100
	v_mul_lo_u32 v11, v11, s61                                 // 00000000336C: D285000B 00007B0B
	v_and_b32_e64 v46, v0, 3                                   // 000000003374: D113002E 00010700
	v_lshrrev_b32_e32 v46, 1, v46                              // 00000000337C: 205C5C81
	v_mul_lo_u32 v46, 4, v46                                   // 000000003380: D285002E 00025C84
	v_add_u32_e32 v11, v11, v46                                // 000000003388: 68165D0B
	s_lshr_b32 s60, s65, 7                                     // 00000000338C: 8F3C8741
	s_mul_i32 s60, s60, s61                                    // 000000003390: 923C3D3C
	v_add_u32_e64 v13, v11, s60                                // 000000003394: D134000D 0000790B
	s_mov_b32 s4, 8                                            // 00000000339C: BE840088
	s_mul_i32 s60, s2, 1                                       // 0000000033A0: 923C8102
	s_mul_i32 s60, s60, s61                                    // 0000000033A4: 923C3D3C
	s_mul_i32 s61, s5, s74                                     // 0000000033A8: 923D4A05
	s_add_u32 s61, s61, s60                                    // 0000000033AC: 803D3C3D
	s_add_u32 s32, s61, s32                                    // 0000000033B0: 8020203D
	s_addc_u32 s33, 0, s33                                     // 0000000033B4: 82212180
	s_lshr_b32 s60, s65, 7                                     // 0000000033B8: 8F3C8741
	s_mul_i32 s61, s60, 4                                      // 0000000033BC: 923D843C
	s_mul_i32 s60, s2, 1                                       // 0000000033C0: 923C8102
	s_mul_i32 s60, s60, 4                                      // 0000000033C4: 923C843C
	v_and_b32_e64 v6, v0, 1                                    // 0000000033C8: D1130006 00010300
	v_mul_lo_u32 v6, v6, s61                                   // 0000000033D0: D2850006 00007B06
	v_and_b32_e64 v46, v0, 1                                   // 0000000033D8: D113002E 00010300
	v_lshrrev_b32_e32 v46, 1, v46                              // 0000000033E0: 205C5C81
	v_mul_lo_u32 v46, 4, v46                                   // 0000000033E4: D285002E 00025C84
	v_add_i32 v6, v6, v46                                      // 0000000033EC: D29C0006 00025D06
	v_add_i32 v6, v6, s60                                      // 0000000033F4: D29C0006 00007906
	s_mul_i32 s60, s5, s75                                     // 0000000033FC: 923C4B05
	s_add_u32 s16, s60, s16                                    // 000000003400: 8010103C
	s_addc_u32 s17, 0, s17                                     // 000000003404: 82111180
	s_mov_b32 s57, 0x200                                       // 000000003408: BEB900FF 00000200
	s_mov_b32 s58, 0x1000                                      // 000000003410: BEBA00FF 00001000
	s_mul_i32 s79, 2, s61                                      // 000000003418: 924F3D82
	s_mov_b32 s59, 0                                           // 00000000341C: BEBB0080
	s_mov_b32 s90, s58                                         // 000000003420: BEDA003A
	s_mov_b32 s53, 0x7060302                                   // 000000003424: BEB500FF 07060302
	s_mov_b32 s54, 0x400                                       // 00000000342C: BEB600FF 00000400
	s_mov_b32 s55, 0x40100                                     // 000000003434: BEB700FF 00040100
	s_mov_b32 s63, 0x4020100                                   // 00000000343C: BEBF00FF 04020100
	s_mov_b32 s6, 0x3fb8aa3b                                   // 000000003444: BE8600FF 3FB8AA3B
	s_mov_b32 s77, 0xbd92220c                                  // 00000000344C: BECD00FF BD92220C
	s_mov_b32 m0, s50                                          // 000000003454: BEFC0032
	v_mov_b32_e32 v1, 0xbfcc4231                               // 000000003458: 7E0202FF BFCC4231
	v_mov_b32_e32 v43, 0xffff0000                              // 000000003460: 7E5602FF FFFF0000
	v_mov_b32_e32 v44, 0x7fff0000                              // 000000003468: 7E5802FF 7FFF0000
	v_mov_b32_e32 v45, 0x7fff                                  // 000000003470: 7E5A02FF 00007FFF
	s_waitcnt vmcnt(0) expcnt(0) lgkmcnt(0)                    // 000000003478: BF8C0000
	v_and_b32_e32 v7, 0xffffff, v7                             // 00000000347C: 260E0EFF 00FFFFFF
	v_and_b32_e32 v8, 0xffffff, v8                             // 000000003484: 261010FF 00FFFFFF
	v_lshlrev_b32_e32 v7, 2, v7                                // 00000000348C: 240E0E82
	v_lshlrev_b32_e32 v8, 2, v8                                // 000000003490: 24101082
	v_lshlrev_b32_e32 v3, 2, v0                                // 000000003494: 24060082
	buffer_load_dword v27, v9, s[40:43], 0 offen               // 000000003498: E0501000 800A1B09
	buffer_load_dword v28, v10, s[40:43], 0 offen              // 0000000034A0: E0501000 800A1C0A
	buffer_load_dwordx4 v[112:115], v34, s[20:23], 0 offen     // 0000000034A8: E05C1000 80057022
	buffer_load_dwordx4 v[116:119], v34, s[20:23], 0 offen offset:16// 0000000034B0: E05C1010 80057422
	s_add_u32 s20, s57, s20                                    // 0000000034B8: 80141439
	s_addc_u32 s21, 0, s21                                     // 0000000034BC: 82151580
	buffer_load_dword v21, v11, s[32:35], 0 offen              // 0000000034C0: E0501000 8008150B
	buffer_load_dword v24, v13, s[32:35], 0 offen              // 0000000034C8: E0501000 8008180D
	s_add_u32 s60, 0x100, s80                                  // 0000000034D0: 803C50FF 00000100
	s_cmp_lt_u32 s60, s81                                      // 0000000034D8: BF0A513C
	s_cselect_b32 s4, s4, 0                                    // 0000000034DC: 85048004
	s_add_u32 s32, s4, s32                                     // 0000000034E0: 80202004
	s_addc_u32 s33, 0, s33                                     // 0000000034E4: 82212180
	buffer_load_dwordx4 a[0:3], v36, s[24:27], 0 offen         // 0000000034E8: E05C1000 80860024
	buffer_load_dwordx4 a[4:7], v36, s[24:27], 0 offen offset:1024// 0000000034F0: E05C1400 80860424
	buffer_load_dwordx4 a[8:11], v37, s[24:27], 0 offen        // 0000000034F8: E05C1000 80860825
	buffer_load_dwordx4 a[12:15], v37, s[24:27], 0 offen offset:1024// 000000003500: E05C1400 80860C25
	buffer_load_dwordx4 a[16:19], v36, s[24:27], 0 offen offset:2048// 000000003508: E05C1800 80861024
	buffer_load_dwordx4 a[20:23], v36, s[24:27], 0 offen offset:3072// 000000003510: E05C1C00 80861424
	buffer_load_dwordx4 a[24:27], v37, s[24:27], 0 offen offset:2048// 000000003518: E05C1800 80861825
	buffer_load_dwordx4 a[28:31], v37, s[24:27], 0 offen offset:3072// 000000003520: E05C1C00 80861C25
	buffer_load_dwordx4 a[32:35], v36, s[92:95], 0 offen       // 000000003528: E05C1000 80972024
	buffer_load_dwordx4 a[36:39], v36, s[92:95], 0 offen offset:1024// 000000003530: E05C1400 80972424
	buffer_load_dwordx4 a[40:43], v37, s[92:95], 0 offen       // 000000003538: E05C1000 80972825
	buffer_load_dwordx4 a[44:47], v37, s[92:95], 0 offen offset:1024// 000000003540: E05C1400 80972C25
	buffer_load_dwordx4 a[48:51], v36, s[92:95], 0 offen offset:2048// 000000003548: E05C1800 80973024
	buffer_load_dwordx4 a[52:55], v36, s[92:95], 0 offen offset:3072// 000000003550: E05C1C00 80973424
	buffer_load_dwordx4 a[56:59], v37, s[92:95], 0 offen offset:2048// 000000003558: E05C1800 80973825
	buffer_load_dwordx4 a[60:63], v37, s[92:95], 0 offen offset:3072// 000000003560: E05C1C00 80973C25
	s_add_u32 s24, s58, s24                                    // 000000003568: 8018183A
	s_addc_u32 s25, 0, s25                                     // 00000000356C: 82191980
	s_add_u32 s92, s90, s92                                    // 000000003570: 805C5C5A
	s_addc_u32 s93, 0, s93                                     // 000000003574: 825D5D80
	buffer_load_dwordx4 v[128:131], v34, s[20:23], 0 offen     // 000000003578: E05C1000 80058022
	buffer_load_dwordx4 v[132:135], v34, s[20:23], 0 offen offset:16// 000000003580: E05C1010 80058422
	s_add_u32 s60, 0x200, s80                                  // 000000003588: 803C50FF 00000200
	s_cmp_lt_u32 s60, s81                                      // 000000003590: BF0A513C
	s_cselect_b32 s57, s57, 0                                  // 000000003594: 85398039
	s_add_u32 s20, s57, s20                                    // 000000003598: 80141439
	s_addc_u32 s21, 0, s21                                     // 00000000359C: 82151580
	buffer_load_dword v22, v11, s[32:35], 0 offen              // 0000000035A0: E0501000 8008160B
	buffer_load_dword v25, v13, s[32:35], 0 offen              // 0000000035A8: E0501000 8008190D
	s_add_u32 s60, 0x200, s80                                  // 0000000035B0: 803C50FF 00000200
	s_cmp_lt_u32 s60, s81                                      // 0000000035B8: BF0A513C
	s_cselect_b32 s4, s4, 0                                    // 0000000035BC: 85048004
	s_add_u32 s32, s4, s32                                     // 0000000035C0: 80202004
	s_addc_u32 s33, 0, s33                                     // 0000000035C4: 82212180
	buffer_load_dwordx4 a[64:67], v36, s[24:27], 0 offen       // 0000000035C8: E05C1000 80864024
	buffer_load_dwordx4 a[68:71], v36, s[24:27], 0 offen offset:1024// 0000000035D0: E05C1400 80864424
	buffer_load_dwordx4 a[72:75], v37, s[24:27], 0 offen       // 0000000035D8: E05C1000 80864825
	buffer_load_dwordx4 a[76:79], v37, s[24:27], 0 offen offset:1024// 0000000035E0: E05C1400 80864C25
	buffer_load_dwordx4 a[80:83], v36, s[24:27], 0 offen offset:2048// 0000000035E8: E05C1800 80865024
	buffer_load_dwordx4 a[84:87], v36, s[24:27], 0 offen offset:3072// 0000000035F0: E05C1C00 80865424
	buffer_load_dwordx4 a[88:91], v37, s[24:27], 0 offen offset:2048// 0000000035F8: E05C1800 80865825
	buffer_load_dwordx4 a[92:95], v37, s[24:27], 0 offen offset:3072// 000000003600: E05C1C00 80865C25
	buffer_load_dwordx4 a[96:99], v36, s[92:95], 0 offen       // 000000003608: E05C1000 80976024
	buffer_load_dwordx4 a[100:103], v36, s[92:95], 0 offen offset:1024// 000000003610: E05C1400 80976424
	buffer_load_dwordx4 a[104:107], v37, s[92:95], 0 offen     // 000000003618: E05C1000 80976825
	buffer_load_dwordx4 a[108:111], v37, s[92:95], 0 offen offset:1024// 000000003620: E05C1400 80976C25
	buffer_load_dwordx4 a[112:115], v36, s[92:95], 0 offen offset:2048// 000000003628: E05C1800 80977024
	buffer_load_dwordx4 a[116:119], v36, s[92:95], 0 offen offset:3072// 000000003630: E05C1C00 80977424
	buffer_load_dwordx4 a[120:123], v37, s[92:95], 0 offen offset:2048// 000000003638: E05C1800 80977825
	buffer_load_dwordx4 a[124:127], v37, s[92:95], 0 offen offset:3072// 000000003640: E05C1C00 80977C25
	s_add_u32 s60, 0x200, s80                                  // 000000003648: 803C50FF 00000200
	s_cmp_lt_u32 s60, s81                                      // 000000003650: BF0A513C
	s_cselect_b32 s58, s58, 0                                  // 000000003654: 853A803A
	s_cselect_b32 s90, s90, 0                                  // 000000003658: 855A805A
	s_add_u32 s24, s58, s24                                    // 00000000365C: 8018183A
	s_addc_u32 s25, 0, s25                                     // 000000003660: 82191980
	s_add_u32 s92, s90, s92                                    // 000000003664: 805C5C5A
	s_addc_u32 s93, 0, s93                                     // 000000003668: 825D5D80
	v_mov_b32_e32 v96, 0                                       // 00000000366C: 7EC00280
	v_mov_b32_e32 v64, 0                                       // 000000003670: 7E800280
	v_mov_b32_e32 v97, 0                                       // 000000003674: 7EC20280
	v_mov_b32_e32 v65, 0                                       // 000000003678: 7E820280
	v_mov_b32_e32 v98, 0                                       // 00000000367C: 7EC40280
	v_mov_b32_e32 v66, 0                                       // 000000003680: 7E840280
	v_mov_b32_e32 v99, 0                                       // 000000003684: 7EC60280
	v_mov_b32_e32 v67, 0                                       // 000000003688: 7E860280
	v_mov_b32_e32 v100, 0                                      // 00000000368C: 7EC80280
	v_mov_b32_e32 v68, 0                                       // 000000003690: 7E880280
	v_mov_b32_e32 v101, 0                                      // 000000003694: 7ECA0280
	v_mov_b32_e32 v69, 0                                       // 000000003698: 7E8A0280
	v_mov_b32_e32 v102, 0                                      // 00000000369C: 7ECC0280
	v_mov_b32_e32 v70, 0                                       // 0000000036A0: 7E8C0280
	v_mov_b32_e32 v103, 0                                      // 0000000036A4: 7ECE0280
	v_mov_b32_e32 v71, 0                                       // 0000000036A8: 7E8E0280
	v_mov_b32_e32 v104, 0                                      // 0000000036AC: 7ED00280
	v_mov_b32_e32 v72, 0                                       // 0000000036B0: 7E900280
	v_mov_b32_e32 v105, 0                                      // 0000000036B4: 7ED20280
	v_mov_b32_e32 v73, 0                                       // 0000000036B8: 7E920280
	v_mov_b32_e32 v106, 0                                      // 0000000036BC: 7ED40280
	v_mov_b32_e32 v74, 0                                       // 0000000036C0: 7E940280
	v_mov_b32_e32 v107, 0                                      // 0000000036C4: 7ED60280
	v_mov_b32_e32 v75, 0                                       // 0000000036C8: 7E960280
	v_mov_b32_e32 v108, 0                                      // 0000000036CC: 7ED80280
	v_mov_b32_e32 v76, 0                                       // 0000000036D0: 7E980280
	v_mov_b32_e32 v109, 0                                      // 0000000036D4: 7EDA0280
	v_mov_b32_e32 v77, 0                                       // 0000000036D8: 7E9A0280
	v_mov_b32_e32 v110, 0                                      // 0000000036DC: 7EDC0280
	v_mov_b32_e32 v78, 0                                       // 0000000036E0: 7E9C0280
	v_mov_b32_e32 v111, 0                                      // 0000000036E4: 7EDE0280
	v_mov_b32_e32 v79, 0                                       // 0000000036E8: 7E9E0280
	v_lshrrev_b32_e32 v46, 4, v0                               // 0000000036EC: 205C0084
	v_mul_lo_u32 v4, 34, v46                                   // 0000000036F0: D2850004 00025CA2
	v_and_b32_e32 v46, 15, v0                                  // 0000000036F8: 265C008F
	v_mul_lo_u32 v47, 2, v46                                   // 0000000036FC: D285002F 00025C82
	v_add_u32_e32 v4, v47, v4                                  // 000000003704: 6808092F
	s_mul_i32 s60, s7, 0x88                                    // 000000003708: 923CFF07 00000088
	v_add_u32_e32 v4, s60, v4                                  // 000000003710: 6808083C
	v_lshlrev_b32_e32 v4, 2, v4                                // 000000003714: 24080882
	v_lshrrev_b32_e32 v46, 1, v0                               // 000000003718: 205C0081
	v_mul_lo_u32 v5, 34, v46                                   // 00000000371C: D2850005 00025CA2
	v_and_b32_e32 v47, 1, v0                                   // 000000003724: 265E0081
	v_add_u32_e32 v5, v47, v5                                  // 000000003728: 680A0B2F
	s_mov_b32 s60, 0                                           // 00000000372C: BEBC0080
	s_lshr_b32 s61, s7, 1                                      // 000000003730: 8F3D8107
	s_mul_i32 s61, s61, 8                                      // 000000003734: 923D883D
	s_add_u32 s60, s61, s60                                    // 000000003738: 803C3C3D
	s_and_b32 s61, s7, 1                                       // 00000000373C: 863D8107
	s_mul_i32 s61, s61, 2                                      // 000000003740: 923D823D
	s_add_u32 s60, s61, s60                                    // 000000003744: 803C3C3D
	s_mul_i32 s60, 2, s60                                      // 000000003748: 923C3C82
	v_add_u32_e32 v5, s60, v5                                  // 00000000374C: 680A0A3C
	v_lshlrev_b32_e32 v5, 2, v5                                // 000000003750: 240A0A82
	s_waitcnt vmcnt(34)                                        // 000000003754: BF8C8F72
	v_mov_b32_e32 v30, 0                                       // 000000003758: 7E3C0280
	v_lshlrev_b32_e32 v46, 16, v112                            // 00000000375C: 245CE090
	v_and_b32_e32 v47, 0xffff0000, v112                        // 000000003760: 265EE0FF FFFF0000
	v_max3_f32 v30, |v47|, |v46|, v30                          // 000000003768: D1D3031E 047A5D2F
	v_lshlrev_b32_e32 v46, 16, v113                            // 000000003770: 245CE290
	v_and_b32_e32 v47, 0xffff0000, v113                        // 000000003774: 265EE2FF FFFF0000
	v_max3_f32 v30, |v47|, |v46|, v30                          // 00000000377C: D1D3031E 047A5D2F
	v_lshlrev_b32_e32 v46, 16, v114                            // 000000003784: 245CE490
	v_and_b32_e32 v47, 0xffff0000, v114                        // 000000003788: 265EE4FF FFFF0000
	v_max3_f32 v30, |v47|, |v46|, v30                          // 000000003790: D1D3031E 047A5D2F
	v_lshlrev_b32_e32 v46, 16, v115                            // 000000003798: 245CE690
	v_and_b32_e32 v47, 0xffff0000, v115                        // 00000000379C: 265EE6FF FFFF0000
	v_max3_f32 v30, |v47|, |v46|, v30                          // 0000000037A4: D1D3031E 047A5D2F
	v_lshlrev_b32_e32 v46, 16, v116                            // 0000000037AC: 245CE890
	v_and_b32_e32 v47, 0xffff0000, v116                        // 0000000037B0: 265EE8FF FFFF0000
	v_max3_f32 v30, |v47|, |v46|, v30                          // 0000000037B8: D1D3031E 047A5D2F
	v_lshlrev_b32_e32 v46, 16, v117                            // 0000000037C0: 245CEA90
	v_and_b32_e32 v47, 0xffff0000, v117                        // 0000000037C4: 265EEAFF FFFF0000
	v_max3_f32 v30, |v47|, |v46|, v30                          // 0000000037CC: D1D3031E 047A5D2F
	v_lshlrev_b32_e32 v46, 16, v118                            // 0000000037D4: 245CEC90
	v_and_b32_e32 v47, 0xffff0000, v118                        // 0000000037D8: 265EECFF FFFF0000
	v_max3_f32 v30, |v47|, |v46|, v30                          // 0000000037E0: D1D3031E 047A5D2F
	v_lshlrev_b32_e32 v46, 16, v119                            // 0000000037E8: 245CEE90
	v_and_b32_e32 v47, 0xffff0000, v119                        // 0000000037EC: 265EEEFF FFFF0000
	v_max3_f32 v30, |v47|, |v46|, v30                          // 0000000037F4: D1D3031E 047A5D2F
	s_barrier                                                  // 0000000037FC: BF8A0000
	v_max_f32_dpp v31, v30, v30 quad_perm:[1,2,3,0] row_mask:0xf bank_mask:0xf// 000000003800: 163E3CFA FF00391E
	s_nop 1                                                    // 000000003808: BF800001
	v_max_f32_dpp v46, v31, v31 quad_perm:[2,3,0,1] row_mask:0xf bank_mask:0xf// 00000000380C: 165C3EFA FF004E1F
	s_nop 1                                                    // 000000003814: BF800001
	v_max_f32_dpp v30, v46, v46 row_half_mirror row_mask:0xf bank_mask:0xf// 000000003818: 163C5CFA FF01412E
	v_rcp_f32_e32 v46, v30                                     // 000000003820: 7E5C451E
	v_mov_b32_e32 v47, 0x43e00000                              // 000000003824: 7E5E02FF 43E00000
	v_mul_f32_e32 v31, v47, v46                                // 00000000382C: 0A3E5D2F
	v_mov_b32_e32 v30, v31                                     // 000000003830: 7E3C031F
	v_lshlrev_b32_e32 v46, 16, v112                            // 000000003834: 245CE090
	v_and_b32_e32 v47, 0xffff0000, v112                        // 000000003838: 265EE0FF FFFF0000
	v_pk_mul_f32 v[46:47], v[46:47], v[30:31]                  // 000000003840: D3B1402E 18023D2E
	v_cvt_pk_fp8_f32 v112, v46, v47                            // 000000003848: D2A20070 00025F2E
	v_lshlrev_b32_e32 v46, 16, v113                            // 000000003850: 245CE290
	v_and_b32_e32 v47, 0xffff0000, v113                        // 000000003854: 265EE2FF FFFF0000
	v_pk_mul_f32 v[46:47], v[46:47], v[30:31]                  // 00000000385C: D3B1402E 18023D2E
	v_cvt_pk_fp8_f32 v112, v46, v47 op_sel:[0,0,1]             // 000000003864: D2A24070 00025F2E
	v_lshlrev_b32_e32 v46, 16, v114                            // 00000000386C: 245CE490
	v_and_b32_e32 v47, 0xffff0000, v114                        // 000000003870: 265EE4FF FFFF0000
	v_pk_mul_f32 v[46:47], v[46:47], v[30:31]                  // 000000003878: D3B1402E 18023D2E
	v_cvt_pk_fp8_f32 v113, v46, v47                            // 000000003880: D2A20071 00025F2E
	v_lshlrev_b32_e32 v46, 16, v115                            // 000000003888: 245CE690
	v_and_b32_e32 v47, 0xffff0000, v115                        // 00000000388C: 265EE6FF FFFF0000
	v_pk_mul_f32 v[46:47], v[46:47], v[30:31]                  // 000000003894: D3B1402E 18023D2E
	v_cvt_pk_fp8_f32 v113, v46, v47 op_sel:[0,0,1]             // 00000000389C: D2A24071 00025F2E
	v_lshlrev_b32_e32 v46, 16, v116                            // 0000000038A4: 245CE890
	v_and_b32_e32 v47, 0xffff0000, v116                        // 0000000038A8: 265EE8FF FFFF0000
	v_pk_mul_f32 v[46:47], v[46:47], v[30:31]                  // 0000000038B0: D3B1402E 18023D2E
	v_cvt_pk_fp8_f32 v114, v46, v47                            // 0000000038B8: D2A20072 00025F2E
	v_lshlrev_b32_e32 v46, 16, v117                            // 0000000038C0: 245CEA90
	v_and_b32_e32 v47, 0xffff0000, v117                        // 0000000038C4: 265EEAFF FFFF0000
	v_pk_mul_f32 v[46:47], v[46:47], v[30:31]                  // 0000000038CC: D3B1402E 18023D2E
	v_cvt_pk_fp8_f32 v114, v46, v47 op_sel:[0,0,1]             // 0000000038D4: D2A24072 00025F2E
	v_lshlrev_b32_e32 v46, 16, v118                            // 0000000038DC: 245CEC90
	v_and_b32_e32 v47, 0xffff0000, v118                        // 0000000038E0: 265EECFF FFFF0000
	v_pk_mul_f32 v[46:47], v[46:47], v[30:31]                  // 0000000038E8: D3B1402E 18023D2E
	v_cvt_pk_fp8_f32 v115, v46, v47                            // 0000000038F0: D2A20073 00025F2E
	v_lshlrev_b32_e32 v46, 16, v119                            // 0000000038F8: 245CEE90
	v_and_b32_e32 v47, 0xffff0000, v119                        // 0000000038FC: 265EEEFF FFFF0000
	v_pk_mul_f32 v[46:47], v[46:47], v[30:31]                  // 000000003904: D3B1402E 18023D2E
	v_cvt_pk_fp8_f32 v115, v46, v47 op_sel:[0,0,1]             // 00000000390C: D2A24073 00025F2E
	v_lshlrev_b32_e32 v46, 4, v0                               // 000000003914: 245C0084
	v_add_u32_e64 v46, v46, s50                                // 000000003918: D134002E 0000652E
	ds_write_b128 v46, v[112:115]                              // 000000003920: D9BE0000 0000702E
	v_rcp_f32_e32 v32, v31                                     // 000000003928: 7E40451F
	v_add_u32_e32 v46, 0, v33                                  // 00000000392C: 685C4280
	s_mov_b64 s[60:61], exec                                   // 000000003930: BEBC017E
	s_mov_b32 s62, 0xf0f0f0f                                   // 000000003934: BEBE00FF 0F0F0F0F
	s_mov_b32 s63, 0xf0f0f0f                                   // 00000000393C: BEBF00FF 0F0F0F0F
	s_mov_b64 exec, s[62:63]                                   // 000000003944: BEFE013E
	ds_write_b32 v46, v32 offset:4352                          // 000000003948: D81A1100 0000202E
	s_mov_b64 exec, s[60:61]                                   // 000000003950: BEFE013C
	s_waitcnt lgkmcnt(0)                                       // 000000003954: BF8CC07F
	s_barrier                                                  // 000000003958: BF8A0000
	ds_read_b128 v[112:115], v2                                // 00000000395C: D9FE0000 70000002
	ds_read_b128 v[116:119], v2 offset:64                      // 000000003964: D9FE0040 74000002
	ds_read_b128 v[120:123], v2 offset:512                     // 00000000396C: D9FE0200 78000002
	ds_read_b128 v[124:127], v2 offset:576                     // 000000003974: D9FE0240 7C000002
	ds_read_b32 v15, v3 offset:4352                            // 00000000397C: D86C1100 0F000003
	ds_read_b32 v16, v3 offset:4608                            // 000000003984: D86C1200 10000003
	ds_read_b32 v17, v3 offset:4864                            // 00000000398C: D86C1300 11000003
	ds_read_b32 v18, v3 offset:5120                            // 000000003994: D86C1400 12000003
	s_cmp_lt_i32 s7, 2                                         // 00000000399C: BF048207
	s_cbranch_scc0 label_0B28                                  // 0000000039A0: BF84083F

00000000000039a4 <label_02E9>:
	s_waitcnt vmcnt(35) lgkmcnt(0)                             // 0000000039A4: BF8C8073
	s_barrier                                                  // 0000000039A8: BF8A0000
	v_mfma_f32_16x16x128_f8f6f4 v[104:107], a[0:7], v[112:119], 0// 0000000039AC: D3AD0068 0A02E100
	s_waitcnt vmcnt(27)                                        // 0000000039B4: BF8C4F7B
	v_mfma_f32_16x16x128_f8f6f4 v[108:111], a[8:15], v[112:119], 0// 0000000039B8: D3AD006C 0A02E108
	buffer_load_dwordx4 v[144:147], v34, s[20:23], 0 offen     // 0000000039C0: E05C1000 80059022
	buffer_load_dwordx4 v[148:151], v34, s[20:23], 0 offen offset:16// 0000000039C8: E05C1010 80059422
	buffer_load_dword v23, v11, s[32:35], 0 offen              // 0000000039D0: E0501000 8008170B
	buffer_load_dword v26, v13, s[32:35], 0 offen              // 0000000039D8: E0501000 80081A0D
	buffer_load_dwordx4 a[128:131], v36, s[24:27], 0 offen     // 0000000039E0: E05C1000 80868024
	buffer_load_dwordx4 a[132:135], v36, s[24:27], 0 offen offset:1024// 0000000039E8: E05C1400 80868424
	buffer_load_dwordx4 a[136:139], v37, s[24:27], 0 offen     // 0000000039F0: E05C1000 80868825
	buffer_load_dwordx4 a[140:143], v37, s[24:27], 0 offen offset:1024// 0000000039F8: E05C1400 80868C25
	v_mul_f32_dpp v46, v21, v15 row_newbcast:0 row_mask:0xf bank_mask:0xf// 000000003A00: 0A5C1EFA FF015015
	v_mov_b32_e32 v47, v46                                     // 000000003A08: 7E5E032E
	v_pk_fma_f32 v[96:97], v[104:105], v[46:47], v[96:97]      // 000000003A0C: D3B04060 1D825D68
	v_pk_fma_f32 v[98:99], v[106:107], v[46:47], v[98:99]      // 000000003A14: D3B04062 1D8A5D6A
	v_pk_fma_f32 v[100:101], v[108:109], v[46:47], v[100:101]  // 000000003A1C: D3B04064 1D925D6C
	v_pk_fma_f32 v[102:103], v[110:111], v[46:47], v[102:103]  // 000000003A24: D3B04066 1D9A5D6E
	s_waitcnt vmcnt(33)                                        // 000000003A2C: BF8C8F71
	v_mfma_f32_16x16x128_f8f6f4 v[104:107], a[16:23], v[120:127], 0// 000000003A30: D3AD0068 0A02F110
	s_waitcnt vmcnt(31)                                        // 000000003A38: BF8C4F7F
	v_mfma_f32_16x16x128_f8f6f4 v[108:111], a[24:31], v[120:127], 0// 000000003A3C: D3AD006C 0A02F118
	buffer_load_dwordx4 a[144:147], v36, s[24:27], 0 offen offset:2048// 000000003A44: E05C1800 80869024
	buffer_load_dwordx4 a[148:151], v36, s[24:27], 0 offen offset:3072// 000000003A4C: E05C1C00 80869424
	buffer_load_dwordx4 a[152:155], v37, s[24:27], 0 offen offset:2048// 000000003A54: E05C1800 80869825
	buffer_load_dwordx4 a[156:159], v37, s[24:27], 0 offen offset:3072// 000000003A5C: E05C1C00 80869C25
	v_mul_f32_dpp v46, v21, v16 row_newbcast:2 row_mask:0xf bank_mask:0xf// 000000003A64: 0A5C20FA FF015215
	v_mov_b32_e32 v47, v46                                     // 000000003A6C: 7E5E032E
	v_pk_fma_f32 v[96:97], v[104:105], v[46:47], v[96:97]      // 000000003A70: D3B04060 1D825D68
	v_pk_fma_f32 v[98:99], v[106:107], v[46:47], v[98:99]      // 000000003A78: D3B04062 1D8A5D6A
	v_pk_fma_f32 v[100:101], v[108:109], v[46:47], v[100:101]  // 000000003A80: D3B04064 1D925D6C
	v_pk_fma_f32 v[102:103], v[110:111], v[46:47], v[102:103]  // 000000003A88: D3B04066 1D9A5D6E
	s_add_u32 s60, 0x300, s80                                  // 000000003A90: 803C50FF 00000300
	s_cmp_lt_u32 s60, s81                                      // 000000003A98: BF0A513C
	s_cselect_b32 s4, s4, 0                                    // 000000003A9C: 85048004
	s_add_u32 s32, s4, s32                                     // 000000003AA0: 80202004
	s_addc_u32 s33, 0, s33                                     // 000000003AA4: 82212180
	s_waitcnt vmcnt(21)                                        // 000000003AA8: BF8C4F75
	s_barrier                                                  // 000000003AAC: BF8A0000
	v_mfma_f32_16x16x128_f8f6f4 v[104:107], a[32:39], v[112:119], 0// 000000003AB0: D3AD0068 0A02E120
	s_waitcnt vmcnt(21)                                        // 000000003AB8: BF8C4F75
	v_mfma_f32_16x16x128_f8f6f4 v[108:111], a[40:47], v[112:119], 0// 000000003ABC: D3AD006C 0A02E128
	buffer_load_dwordx4 a[160:163], v36, s[92:95], 0 offen     // 000000003AC4: E05C1000 8097A024
	buffer_load_dwordx4 a[164:167], v36, s[92:95], 0 offen offset:1024// 000000003ACC: E05C1400 8097A424
	buffer_load_dwordx4 a[168:171], v37, s[92:95], 0 offen     // 000000003AD4: E05C1000 8097A825
	buffer_load_dwordx4 a[172:175], v37, s[92:95], 0 offen offset:1024// 000000003ADC: E05C1400 8097AC25
	s_waitcnt vmcnt(22)                                        // 000000003AE4: BF8C4F76
	v_mov_b32_e32 v30, 0                                       // 000000003AE8: 7E3C0280
	v_lshlrev_b32_e32 v46, 16, v128                            // 000000003AEC: 245D0090
	v_and_b32_e32 v47, 0xffff0000, v128                        // 000000003AF0: 265F00FF FFFF0000
	v_max3_f32 v30, |v47|, |v46|, v30                          // 000000003AF8: D1D3031E 047A5D2F
	v_lshlrev_b32_e32 v46, 16, v129                            // 000000003B00: 245D0290
	v_and_b32_e32 v47, 0xffff0000, v129                        // 000000003B04: 265F02FF FFFF0000
	v_max3_f32 v30, |v47|, |v46|, v30                          // 000000003B0C: D1D3031E 047A5D2F
	v_lshlrev_b32_e32 v46, 16, v130                            // 000000003B14: 245D0490
	v_and_b32_e32 v47, 0xffff0000, v130                        // 000000003B18: 265F04FF FFFF0000
	v_max3_f32 v30, |v47|, |v46|, v30                          // 000000003B20: D1D3031E 047A5D2F
	v_lshlrev_b32_e32 v46, 16, v131                            // 000000003B28: 245D0690
	v_and_b32_e32 v47, 0xffff0000, v131                        // 000000003B2C: 265F06FF FFFF0000
	v_max3_f32 v30, |v47|, |v46|, v30                          // 000000003B34: D1D3031E 047A5D2F
	v_lshlrev_b32_e32 v46, 16, v132                            // 000000003B3C: 245D0890
	v_and_b32_e32 v47, 0xffff0000, v132                        // 000000003B40: 265F08FF FFFF0000
	v_max3_f32 v30, |v47|, |v46|, v30                          // 000000003B48: D1D3031E 047A5D2F
	v_lshlrev_b32_e32 v46, 16, v133                            // 000000003B50: 245D0A90
	v_and_b32_e32 v47, 0xffff0000, v133                        // 000000003B54: 265F0AFF FFFF0000
	v_max3_f32 v30, |v47|, |v46|, v30                          // 000000003B5C: D1D3031E 047A5D2F
	v_lshlrev_b32_e32 v46, 16, v134                            // 000000003B64: 245D0C90
	v_and_b32_e32 v47, 0xffff0000, v134                        // 000000003B68: 265F0CFF FFFF0000
	v_max3_f32 v30, |v47|, |v46|, v30                          // 000000003B70: D1D3031E 047A5D2F
	v_lshlrev_b32_e32 v46, 16, v135                            // 000000003B78: 245D0E90
	v_and_b32_e32 v47, 0xffff0000, v135                        // 000000003B7C: 265F0EFF FFFF0000
	v_max3_f32 v30, |v47|, |v46|, v30                          // 000000003B84: D1D3031E 047A5D2F
	s_barrier                                                  // 000000003B8C: BF8A0000
	v_max_f32_dpp v31, v30, v30 quad_perm:[1,2,3,0] row_mask:0xf bank_mask:0xf// 000000003B90: 163E3CFA FF00391E
	s_nop 1                                                    // 000000003B98: BF800001
	v_max_f32_dpp v46, v31, v31 quad_perm:[2,3,0,1] row_mask:0xf bank_mask:0xf// 000000003B9C: 165C3EFA FF004E1F
	s_nop 1                                                    // 000000003BA4: BF800001
	v_max_f32_dpp v30, v46, v46 row_half_mirror row_mask:0xf bank_mask:0xf// 000000003BA8: 163C5CFA FF01412E
	v_rcp_f32_e32 v46, v30                                     // 000000003BB0: 7E5C451E
	v_mov_b32_e32 v47, 0x43e00000                              // 000000003BB4: 7E5E02FF 43E00000
	v_mul_f32_e32 v31, v47, v46                                // 000000003BBC: 0A3E5D2F
	v_mov_b32_e32 v30, v31                                     // 000000003BC0: 7E3C031F
	v_lshlrev_b32_e32 v46, 16, v128                            // 000000003BC4: 245D0090
	v_and_b32_e32 v47, 0xffff0000, v128                        // 000000003BC8: 265F00FF FFFF0000
	v_pk_mul_f32 v[46:47], v[46:47], v[30:31]                  // 000000003BD0: D3B1402E 18023D2E
	v_cvt_pk_fp8_f32 v128, v46, v47                            // 000000003BD8: D2A20080 00025F2E
	v_lshlrev_b32_e32 v46, 16, v129                            // 000000003BE0: 245D0290
	v_and_b32_e32 v47, 0xffff0000, v129                        // 000000003BE4: 265F02FF FFFF0000
	v_pk_mul_f32 v[46:47], v[46:47], v[30:31]                  // 000000003BEC: D3B1402E 18023D2E
	v_cvt_pk_fp8_f32 v128, v46, v47 op_sel:[0,0,1]             // 000000003BF4: D2A24080 00025F2E
	v_lshlrev_b32_e32 v46, 16, v130                            // 000000003BFC: 245D0490
	v_and_b32_e32 v47, 0xffff0000, v130                        // 000000003C00: 265F04FF FFFF0000
	v_pk_mul_f32 v[46:47], v[46:47], v[30:31]                  // 000000003C08: D3B1402E 18023D2E
	v_cvt_pk_fp8_f32 v129, v46, v47                            // 000000003C10: D2A20081 00025F2E
	v_lshlrev_b32_e32 v46, 16, v131                            // 000000003C18: 245D0690
	v_and_b32_e32 v47, 0xffff0000, v131                        // 000000003C1C: 265F06FF FFFF0000
	v_pk_mul_f32 v[46:47], v[46:47], v[30:31]                  // 000000003C24: D3B1402E 18023D2E
	v_cvt_pk_fp8_f32 v129, v46, v47 op_sel:[0,0,1]             // 000000003C2C: D2A24081 00025F2E
	v_lshlrev_b32_e32 v46, 16, v132                            // 000000003C34: 245D0890
	v_and_b32_e32 v47, 0xffff0000, v132                        // 000000003C38: 265F08FF FFFF0000
	v_pk_mul_f32 v[46:47], v[46:47], v[30:31]                  // 000000003C40: D3B1402E 18023D2E
	v_cvt_pk_fp8_f32 v130, v46, v47                            // 000000003C48: D2A20082 00025F2E
	v_lshlrev_b32_e32 v46, 16, v133                            // 000000003C50: 245D0A90
	v_and_b32_e32 v47, 0xffff0000, v133                        // 000000003C54: 265F0AFF FFFF0000
	v_pk_mul_f32 v[46:47], v[46:47], v[30:31]                  // 000000003C5C: D3B1402E 18023D2E
	v_cvt_pk_fp8_f32 v130, v46, v47 op_sel:[0,0,1]             // 000000003C64: D2A24082 00025F2E
	v_lshlrev_b32_e32 v46, 16, v134                            // 000000003C6C: 245D0C90
	v_and_b32_e32 v47, 0xffff0000, v134                        // 000000003C70: 265F0CFF FFFF0000
	v_pk_mul_f32 v[46:47], v[46:47], v[30:31]                  // 000000003C78: D3B1402E 18023D2E
	v_cvt_pk_fp8_f32 v131, v46, v47                            // 000000003C80: D2A20083 00025F2E
	v_lshlrev_b32_e32 v46, 16, v135                            // 000000003C88: 245D0E90
	v_and_b32_e32 v47, 0xffff0000, v135                        // 000000003C8C: 265F0EFF FFFF0000
	v_pk_mul_f32 v[46:47], v[46:47], v[30:31]                  // 000000003C94: D3B1402E 18023D2E
	v_cvt_pk_fp8_f32 v131, v46, v47 op_sel:[0,0,1]             // 000000003C9C: D2A24083 00025F2E
	v_lshlrev_b32_e32 v46, 4, v0                               // 000000003CA4: 245C0084
	v_add_u32_e64 v46, v46, s51                                // 000000003CA8: D134002E 0000672E
	ds_write_b128 v46, v[128:131]                              // 000000003CB0: D9BE0000 0000802E
	v_rcp_f32_e32 v32, v31                                     // 000000003CB8: 7E40451F
	v_add_u32_e32 v46, 0, v33                                  // 000000003CBC: 685C4280
	s_mov_b64 s[60:61], exec                                   // 000000003CC0: BEBC017E
	s_mov_b32 s62, 0xf0f0f0f                                   // 000000003CC4: BEBE00FF 0F0F0F0F
	s_mov_b32 s63, 0xf0f0f0f                                   // 000000003CCC: BEBF00FF 0F0F0F0F
	s_mov_b64 exec, s[62:63]                                   // 000000003CD4: BEFE013E
	ds_write_b32 v46, v32 offset:9728                          // 000000003CD8: D81A2600 0000202E
	s_mov_b64 exec, s[60:61]                                   // 000000003CE0: BEFE013C
	v_mul_f32_dpp v46, v24, v15 row_newbcast:0 row_mask:0xf bank_mask:0xf// 000000003CE4: 0A5C1EFA FF015018
	v_mov_b32_e32 v47, v46                                     // 000000003CEC: 7E5E032E
	v_pk_fma_f32 v[64:65], v[104:105], v[46:47], v[64:65]      // 000000003CF0: D3B04040 1D025D68
	v_pk_fma_f32 v[66:67], v[106:107], v[46:47], v[66:67]      // 000000003CF8: D3B04042 1D0A5D6A
	v_pk_fma_f32 v[68:69], v[108:109], v[46:47], v[68:69]      // 000000003D00: D3B04044 1D125D6C
	v_pk_fma_f32 v[70:71], v[110:111], v[46:47], v[70:71]      // 000000003D08: D3B04046 1D1A5D6E
	s_waitcnt vmcnt(23)                                        // 000000003D10: BF8C4F77
	v_mfma_f32_16x16x128_f8f6f4 v[104:107], a[48:55], v[120:127], 0// 000000003D14: D3AD0068 0A02F130
	s_waitcnt lgkmcnt(0)                                       // 000000003D1C: BF8CC07F
	s_barrier                                                  // 000000003D20: BF8A0000
	ds_read_b128 v[128:131], v2 offset:5376                    // 000000003D24: D9FE1500 80000002
	ds_read_b128 v[132:135], v2 offset:5440                    // 000000003D2C: D9FE1540 84000002
	ds_read_b128 v[136:139], v2 offset:5888                    // 000000003D34: D9FE1700 88000002
	ds_read_b128 v[140:143], v2 offset:5952                    // 000000003D3C: D9FE1740 8C000002
	ds_read_b32 v17, v3 offset:9728                            // 000000003D44: D86C2600 11000003
	ds_read_b32 v18, v3 offset:9984                            // 000000003D4C: D86C2700 12000003
	s_waitcnt vmcnt(21)                                        // 000000003D54: BF8C4F75
	v_mfma_f32_16x16x128_f8f6f4 v[108:111], a[56:63], v[120:127], 0// 000000003D58: D3AD006C 0A02F138
	buffer_load_dwordx4 a[176:179], v36, s[92:95], 0 offen offset:2048// 000000003D60: E05C1800 8097B024
	buffer_load_dwordx4 a[180:183], v36, s[92:95], 0 offen offset:3072// 000000003D68: E05C1C00 8097B424
	buffer_load_dwordx4 a[184:187], v37, s[92:95], 0 offen offset:2048// 000000003D70: E05C1800 8097B825
	buffer_load_dwordx4 a[188:191], v37, s[92:95], 0 offen offset:3072// 000000003D78: E05C1C00 8097BC25
	v_mul_f32_dpp v46, v24, v16 row_newbcast:2 row_mask:0xf bank_mask:0xf// 000000003D80: 0A5C20FA FF015218
	v_mov_b32_e32 v47, v46                                     // 000000003D88: 7E5E032E
	v_pk_fma_f32 v[64:65], v[104:105], v[46:47], v[64:65]      // 000000003D8C: D3B04040 1D025D68
	v_pk_fma_f32 v[66:67], v[106:107], v[46:47], v[66:67]      // 000000003D94: D3B04042 1D0A5D6A
	v_pk_fma_f32 v[68:69], v[108:109], v[46:47], v[68:69]      // 000000003D9C: D3B04044 1D125D6C
	v_pk_fma_f32 v[70:71], v[110:111], v[46:47], v[70:71]      // 000000003DA4: D3B04046 1D1A5D6E
	s_add_u32 s60, 0x300, s80                                  // 000000003DAC: 803C50FF 00000300
	s_cmp_lt_u32 s60, s81                                      // 000000003DB4: BF0A513C
	s_cselect_b32 s57, s57, 0                                  // 000000003DB8: 85398039
	s_add_u32 s60, 0x300, s80                                  // 000000003DBC: 803C50FF 00000300
	s_cmp_lt_u32 s60, s81                                      // 000000003DC4: BF0A513C
	s_cselect_b32 s58, s58, 0                                  // 000000003DC8: 853A803A
	s_cselect_b32 s90, s90, 0                                  // 000000003DCC: 855A805A
	s_add_u32 s20, s57, s20                                    // 000000003DD0: 80141439
	s_addc_u32 s21, 0, s21                                     // 000000003DD4: 82151580
	s_add_u32 s24, s58, s24                                    // 000000003DD8: 8018183A
	s_addc_u32 s25, 0, s25                                     // 000000003DDC: 82191980
	s_add_u32 s92, s90, s92                                    // 000000003DE0: 805C5C5A
	s_addc_u32 s93, 0, s93                                     // 000000003DE4: 825D5D80
	s_addk_i32 s80, 0x100                                      // 000000003DE8: B7500100
	s_cmp_lt_i32 s80, s81                                      // 000000003DEC: BF045150
	s_cbranch_scc0 label_0626                                  // 000000003DF0: BF840229
	s_waitcnt vmcnt(35) lgkmcnt(0)                             // 000000003DF4: BF8C8073
	s_barrier                                                  // 000000003DF8: BF8A0000
	v_mfma_f32_16x16x128_f8f6f4 v[104:107], a[64:71], v[128:135], 0// 000000003DFC: D3AD0068 0A030140
	s_waitcnt vmcnt(27)                                        // 000000003E04: BF8C4F7B
	v_mfma_f32_16x16x128_f8f6f4 v[108:111], a[72:79], v[128:135], 0// 000000003E08: D3AD006C 0A030148
	buffer_load_dwordx4 v[112:115], v34, s[20:23], 0 offen     // 000000003E10: E05C1000 80057022
	buffer_load_dwordx4 v[116:119], v34, s[20:23], 0 offen offset:16// 000000003E18: E05C1010 80057422
	buffer_load_dword v21, v11, s[32:35], 0 offen              // 000000003E20: E0501000 8008150B
	buffer_load_dword v24, v13, s[32:35], 0 offen              // 000000003E28: E0501000 8008180D
	buffer_load_dwordx4 a[0:3], v36, s[24:27], 0 offen         // 000000003E30: E05C1000 80860024
	buffer_load_dwordx4 a[4:7], v36, s[24:27], 0 offen offset:1024// 000000003E38: E05C1400 80860424
	buffer_load_dwordx4 a[8:11], v37, s[24:27], 0 offen        // 000000003E40: E05C1000 80860825
	buffer_load_dwordx4 a[12:15], v37, s[24:27], 0 offen offset:1024// 000000003E48: E05C1400 80860C25
	v_mul_f32_dpp v46, v22, v17 row_newbcast:0 row_mask:0xf bank_mask:0xf// 000000003E50: 0A5C22FA FF015016
	v_mov_b32_e32 v47, v46                                     // 000000003E58: 7E5E032E
	v_pk_fma_f32 v[96:97], v[104:105], v[46:47], v[96:97]      // 000000003E5C: D3B04060 1D825D68
	v_pk_fma_f32 v[98:99], v[106:107], v[46:47], v[98:99]      // 000000003E64: D3B04062 1D8A5D6A
	v_pk_fma_f32 v[100:101], v[108:109], v[46:47], v[100:101]  // 000000003E6C: D3B04064 1D925D6C
	v_pk_fma_f32 v[102:103], v[110:111], v[46:47], v[102:103]  // 000000003E74: D3B04066 1D9A5D6E
	s_waitcnt vmcnt(33)                                        // 000000003E7C: BF8C8F71
	v_mfma_f32_16x16x128_f8f6f4 v[104:107], a[80:87], v[136:143], 0// 000000003E80: D3AD0068 0A031150
	s_waitcnt vmcnt(31)                                        // 000000003E88: BF8C4F7F
	v_mfma_f32_16x16x128_f8f6f4 v[108:111], a[88:95], v[136:143], 0// 000000003E8C: D3AD006C 0A031158
	buffer_load_dwordx4 a[16:19], v36, s[24:27], 0 offen offset:2048// 000000003E94: E05C1800 80861024
	buffer_load_dwordx4 a[20:23], v36, s[24:27], 0 offen offset:3072// 000000003E9C: E05C1C00 80861424
	buffer_load_dwordx4 a[24:27], v37, s[24:27], 0 offen offset:2048// 000000003EA4: E05C1800 80861825
	buffer_load_dwordx4 a[28:31], v37, s[24:27], 0 offen offset:3072// 000000003EAC: E05C1C00 80861C25
	v_mul_f32_dpp v46, v22, v18 row_newbcast:2 row_mask:0xf bank_mask:0xf// 000000003EB4: 0A5C24FA FF015216
	v_mov_b32_e32 v47, v46                                     // 000000003EBC: 7E5E032E
	v_pk_fma_f32 v[96:97], v[104:105], v[46:47], v[96:97]      // 000000003EC0: D3B04060 1D825D68
	v_pk_fma_f32 v[98:99], v[106:107], v[46:47], v[98:99]      // 000000003EC8: D3B04062 1D8A5D6A
	v_pk_fma_f32 v[100:101], v[108:109], v[46:47], v[100:101]  // 000000003ED0: D3B04064 1D925D6C
	v_pk_fma_f32 v[102:103], v[110:111], v[46:47], v[102:103]  // 000000003ED8: D3B04066 1D9A5D6E
	s_add_u32 s60, 0x300, s80                                  // 000000003EE0: 803C50FF 00000300
	s_cmp_lt_u32 s60, s81                                      // 000000003EE8: BF0A513C
	s_cselect_b32 s4, s4, 0                                    // 000000003EEC: 85048004
	s_add_u32 s32, s4, s32                                     // 000000003EF0: 80202004
	s_addc_u32 s33, 0, s33                                     // 000000003EF4: 82212180
	s_waitcnt vmcnt(21)                                        // 000000003EF8: BF8C4F75
	s_barrier                                                  // 000000003EFC: BF8A0000
	v_mfma_f32_16x16x128_f8f6f4 v[104:107], a[96:103], v[128:135], 0// 000000003F00: D3AD0068 0A030160
	s_waitcnt vmcnt(21)                                        // 000000003F08: BF8C4F75
	v_mfma_f32_16x16x128_f8f6f4 v[108:111], a[104:111], v[128:135], 0// 000000003F0C: D3AD006C 0A030168
	buffer_load_dwordx4 a[32:35], v36, s[92:95], 0 offen       // 000000003F14: E05C1000 80972024
	buffer_load_dwordx4 a[36:39], v36, s[92:95], 0 offen offset:1024// 000000003F1C: E05C1400 80972424
	buffer_load_dwordx4 a[40:43], v37, s[92:95], 0 offen       // 000000003F24: E05C1000 80972825
	buffer_load_dwordx4 a[44:47], v37, s[92:95], 0 offen offset:1024// 000000003F2C: E05C1400 80972C25
	s_waitcnt vmcnt(22)                                        // 000000003F34: BF8C4F76
	v_mov_b32_e32 v30, 0                                       // 000000003F38: 7E3C0280
	v_lshlrev_b32_e32 v46, 16, v144                            // 000000003F3C: 245D2090
	v_and_b32_e32 v47, 0xffff0000, v144                        // 000000003F40: 265F20FF FFFF0000
	v_max3_f32 v30, |v47|, |v46|, v30                          // 000000003F48: D1D3031E 047A5D2F
	v_lshlrev_b32_e32 v46, 16, v145                            // 000000003F50: 245D2290
	v_and_b32_e32 v47, 0xffff0000, v145                        // 000000003F54: 265F22FF FFFF0000
	v_max3_f32 v30, |v47|, |v46|, v30                          // 000000003F5C: D1D3031E 047A5D2F
	v_lshlrev_b32_e32 v46, 16, v146                            // 000000003F64: 245D2490
	v_and_b32_e32 v47, 0xffff0000, v146                        // 000000003F68: 265F24FF FFFF0000
	v_max3_f32 v30, |v47|, |v46|, v30                          // 000000003F70: D1D3031E 047A5D2F
	v_lshlrev_b32_e32 v46, 16, v147                            // 000000003F78: 245D2690
	v_and_b32_e32 v47, 0xffff0000, v147                        // 000000003F7C: 265F26FF FFFF0000
	v_max3_f32 v30, |v47|, |v46|, v30                          // 000000003F84: D1D3031E 047A5D2F
	v_lshlrev_b32_e32 v46, 16, v148                            // 000000003F8C: 245D2890
	v_and_b32_e32 v47, 0xffff0000, v148                        // 000000003F90: 265F28FF FFFF0000
	v_max3_f32 v30, |v47|, |v46|, v30                          // 000000003F98: D1D3031E 047A5D2F
	v_lshlrev_b32_e32 v46, 16, v149                            // 000000003FA0: 245D2A90
	v_and_b32_e32 v47, 0xffff0000, v149                        // 000000003FA4: 265F2AFF FFFF0000
	v_max3_f32 v30, |v47|, |v46|, v30                          // 000000003FAC: D1D3031E 047A5D2F
	v_lshlrev_b32_e32 v46, 16, v150                            // 000000003FB4: 245D2C90
	v_and_b32_e32 v47, 0xffff0000, v150                        // 000000003FB8: 265F2CFF FFFF0000
	v_max3_f32 v30, |v47|, |v46|, v30                          // 000000003FC0: D1D3031E 047A5D2F
	v_lshlrev_b32_e32 v46, 16, v151                            // 000000003FC8: 245D2E90
	v_and_b32_e32 v47, 0xffff0000, v151                        // 000000003FCC: 265F2EFF FFFF0000
	v_max3_f32 v30, |v47|, |v46|, v30                          // 000000003FD4: D1D3031E 047A5D2F
	s_barrier                                                  // 000000003FDC: BF8A0000
	v_max_f32_dpp v31, v30, v30 quad_perm:[1,2,3,0] row_mask:0xf bank_mask:0xf// 000000003FE0: 163E3CFA FF00391E
	s_nop 1                                                    // 000000003FE8: BF800001
	v_max_f32_dpp v46, v31, v31 quad_perm:[2,3,0,1] row_mask:0xf bank_mask:0xf// 000000003FEC: 165C3EFA FF004E1F
	s_nop 1                                                    // 000000003FF4: BF800001
	v_max_f32_dpp v30, v46, v46 row_half_mirror row_mask:0xf bank_mask:0xf// 000000003FF8: 163C5CFA FF01412E
	v_rcp_f32_e32 v46, v30                                     // 000000004000: 7E5C451E
	v_mov_b32_e32 v47, 0x43e00000                              // 000000004004: 7E5E02FF 43E00000
	v_mul_f32_e32 v31, v47, v46                                // 00000000400C: 0A3E5D2F
	v_mov_b32_e32 v30, v31                                     // 000000004010: 7E3C031F
	v_lshlrev_b32_e32 v46, 16, v144                            // 000000004014: 245D2090
	v_and_b32_e32 v47, 0xffff0000, v144                        // 000000004018: 265F20FF FFFF0000
	v_pk_mul_f32 v[46:47], v[46:47], v[30:31]                  // 000000004020: D3B1402E 18023D2E
	v_cvt_pk_fp8_f32 v144, v46, v47                            // 000000004028: D2A20090 00025F2E
	v_lshlrev_b32_e32 v46, 16, v145                            // 000000004030: 245D2290
	v_and_b32_e32 v47, 0xffff0000, v145                        // 000000004034: 265F22FF FFFF0000
	v_pk_mul_f32 v[46:47], v[46:47], v[30:31]                  // 00000000403C: D3B1402E 18023D2E
	v_cvt_pk_fp8_f32 v144, v46, v47 op_sel:[0,0,1]             // 000000004044: D2A24090 00025F2E
	v_lshlrev_b32_e32 v46, 16, v146                            // 00000000404C: 245D2490
	v_and_b32_e32 v47, 0xffff0000, v146                        // 000000004050: 265F24FF FFFF0000
	v_pk_mul_f32 v[46:47], v[46:47], v[30:31]                  // 000000004058: D3B1402E 18023D2E
	v_cvt_pk_fp8_f32 v145, v46, v47                            // 000000004060: D2A20091 00025F2E
	v_lshlrev_b32_e32 v46, 16, v147                            // 000000004068: 245D2690
	v_and_b32_e32 v47, 0xffff0000, v147                        // 00000000406C: 265F26FF FFFF0000
	v_pk_mul_f32 v[46:47], v[46:47], v[30:31]                  // 000000004074: D3B1402E 18023D2E
	v_cvt_pk_fp8_f32 v145, v46, v47 op_sel:[0,0,1]             // 00000000407C: D2A24091 00025F2E
	v_lshlrev_b32_e32 v46, 16, v148                            // 000000004084: 245D2890
	v_and_b32_e32 v47, 0xffff0000, v148                        // 000000004088: 265F28FF FFFF0000
	v_pk_mul_f32 v[46:47], v[46:47], v[30:31]                  // 000000004090: D3B1402E 18023D2E
	v_cvt_pk_fp8_f32 v146, v46, v47                            // 000000004098: D2A20092 00025F2E
	v_lshlrev_b32_e32 v46, 16, v149                            // 0000000040A0: 245D2A90
	v_and_b32_e32 v47, 0xffff0000, v149                        // 0000000040A4: 265F2AFF FFFF0000
	v_pk_mul_f32 v[46:47], v[46:47], v[30:31]                  // 0000000040AC: D3B1402E 18023D2E
	v_cvt_pk_fp8_f32 v146, v46, v47 op_sel:[0,0,1]             // 0000000040B4: D2A24092 00025F2E
	v_lshlrev_b32_e32 v46, 16, v150                            // 0000000040BC: 245D2C90
	v_and_b32_e32 v47, 0xffff0000, v150                        // 0000000040C0: 265F2CFF FFFF0000
	v_pk_mul_f32 v[46:47], v[46:47], v[30:31]                  // 0000000040C8: D3B1402E 18023D2E
	v_cvt_pk_fp8_f32 v147, v46, v47                            // 0000000040D0: D2A20093 00025F2E
	v_lshlrev_b32_e32 v46, 16, v151                            // 0000000040D8: 245D2E90
	v_and_b32_e32 v47, 0xffff0000, v151                        // 0000000040DC: 265F2EFF FFFF0000
	v_pk_mul_f32 v[46:47], v[46:47], v[30:31]                  // 0000000040E4: D3B1402E 18023D2E
	v_cvt_pk_fp8_f32 v147, v46, v47 op_sel:[0,0,1]             // 0000000040EC: D2A24093 00025F2E
	v_lshlrev_b32_e32 v46, 4, v0                               // 0000000040F4: 245C0084
	v_add_u32_e64 v46, v46, s52                                // 0000000040F8: D134002E 0000692E
	ds_write_b128 v46, v[144:147]                              // 000000004100: D9BE0000 0000902E
	v_rcp_f32_e32 v32, v31                                     // 000000004108: 7E40451F
	v_add_u32_e32 v46, 0, v33                                  // 00000000410C: 685C4280
	s_mov_b64 s[60:61], exec                                   // 000000004110: BEBC017E
	s_mov_b32 s62, 0xf0f0f0f                                   // 000000004114: BEBE00FF 0F0F0F0F
	s_mov_b32 s63, 0xf0f0f0f                                   // 00000000411C: BEBF00FF 0F0F0F0F
	s_mov_b64 exec, s[62:63]                                   // 000000004124: BEFE013E
	ds_write_b32 v46, v32 offset:15104                         // 000000004128: D81A3B00 0000202E
	s_mov_b64 exec, s[60:61]                                   // 000000004130: BEFE013C
	v_mul_f32_dpp v46, v25, v17 row_newbcast:0 row_mask:0xf bank_mask:0xf// 000000004134: 0A5C22FA FF015019
	v_mov_b32_e32 v47, v46                                     // 00000000413C: 7E5E032E
	v_pk_fma_f32 v[64:65], v[104:105], v[46:47], v[64:65]      // 000000004140: D3B04040 1D025D68
	v_pk_fma_f32 v[66:67], v[106:107], v[46:47], v[66:67]      // 000000004148: D3B04042 1D0A5D6A
	v_pk_fma_f32 v[68:69], v[108:109], v[46:47], v[68:69]      // 000000004150: D3B04044 1D125D6C
	v_pk_fma_f32 v[70:71], v[110:111], v[46:47], v[70:71]      // 000000004158: D3B04046 1D1A5D6E
	s_waitcnt vmcnt(23)                                        // 000000004160: BF8C4F77
	v_mfma_f32_16x16x128_f8f6f4 v[104:107], a[112:119], v[136:143], 0// 000000004164: D3AD0068 0A031170
	s_waitcnt lgkmcnt(0)                                       // 00000000416C: BF8CC07F
	s_barrier                                                  // 000000004170: BF8A0000
	ds_read_b128 v[144:147], v2 offset:10752                   // 000000004174: D9FE2A00 90000002
	ds_read_b128 v[148:151], v2 offset:10816                   // 00000000417C: D9FE2A40 94000002
	ds_read_b128 v[152:155], v2 offset:11264                   // 000000004184: D9FE2C00 98000002
	ds_read_b128 v[156:159], v2 offset:11328                   // 00000000418C: D9FE2C40 9C000002
	ds_read_b32 v19, v3 offset:15104                           // 000000004194: D86C3B00 13000003
	ds_read_b32 v20, v3 offset:15360                           // 00000000419C: D86C3C00 14000003
	s_waitcnt vmcnt(21)                                        // 0000000041A4: BF8C4F75
	v_mfma_f32_16x16x128_f8f6f4 v[108:111], a[120:127], v[136:143], 0// 0000000041A8: D3AD006C 0A031178
	buffer_load_dwordx4 a[48:51], v36, s[92:95], 0 offen offset:2048// 0000000041B0: E05C1800 80973024
	buffer_load_dwordx4 a[52:55], v36, s[92:95], 0 offen offset:3072// 0000000041B8: E05C1C00 80973424
	buffer_load_dwordx4 a[56:59], v37, s[92:95], 0 offen offset:2048// 0000000041C0: E05C1800 80973825
	buffer_load_dwordx4 a[60:63], v37, s[92:95], 0 offen offset:3072// 0000000041C8: E05C1C00 80973C25
	v_mul_f32_dpp v46, v25, v18 row_newbcast:2 row_mask:0xf bank_mask:0xf// 0000000041D0: 0A5C24FA FF015219
	v_mov_b32_e32 v47, v46                                     // 0000000041D8: 7E5E032E
	v_pk_fma_f32 v[64:65], v[104:105], v[46:47], v[64:65]      // 0000000041DC: D3B04040 1D025D68
	v_pk_fma_f32 v[66:67], v[106:107], v[46:47], v[66:67]      // 0000000041E4: D3B04042 1D0A5D6A
	v_pk_fma_f32 v[68:69], v[108:109], v[46:47], v[68:69]      // 0000000041EC: D3B04044 1D125D6C
	v_pk_fma_f32 v[70:71], v[110:111], v[46:47], v[70:71]      // 0000000041F4: D3B04046 1D1A5D6E
	s_add_u32 s60, 0x300, s80                                  // 0000000041FC: 803C50FF 00000300
	s_cmp_lt_u32 s60, s81                                      // 000000004204: BF0A513C
	s_cselect_b32 s57, s57, 0                                  // 000000004208: 85398039
	s_add_u32 s60, 0x300, s80                                  // 00000000420C: 803C50FF 00000300
	s_cmp_lt_u32 s60, s81                                      // 000000004214: BF0A513C
	s_cselect_b32 s58, s58, 0                                  // 000000004218: 853A803A
	s_cselect_b32 s90, s90, 0                                  // 00000000421C: 855A805A
	s_add_u32 s20, s57, s20                                    // 000000004220: 80141439
	s_addc_u32 s21, 0, s21                                     // 000000004224: 82151580
	s_add_u32 s24, s58, s24                                    // 000000004228: 8018183A
	s_addc_u32 s25, 0, s25                                     // 00000000422C: 82191980
	s_add_u32 s92, s90, s92                                    // 000000004230: 805C5C5A
	s_addc_u32 s93, 0, s93                                     // 000000004234: 825D5D80
	s_addk_i32 s80, 0x100                                      // 000000004238: B7500100
	s_cmp_lt_i32 s80, s81                                      // 00000000423C: BF045150
	s_cbranch_scc0 label_0626                                  // 000000004240: BF840115
	s_waitcnt vmcnt(35) lgkmcnt(0)                             // 000000004244: BF8C8073
	s_barrier                                                  // 000000004248: BF8A0000
	v_mfma_f32_16x16x128_f8f6f4 v[104:107], a[128:135], v[144:151], 0// 00000000424C: D3AD0068 0A032180
	s_waitcnt vmcnt(27)                                        // 000000004254: BF8C4F7B
	v_mfma_f32_16x16x128_f8f6f4 v[108:111], a[136:143], v[144:151], 0// 000000004258: D3AD006C 0A032188
	buffer_load_dwordx4 v[128:131], v34, s[20:23], 0 offen     // 000000004260: E05C1000 80058022
	buffer_load_dwordx4 v[132:135], v34, s[20:23], 0 offen offset:16// 000000004268: E05C1010 80058422
	buffer_load_dword v22, v11, s[32:35], 0 offen              // 000000004270: E0501000 8008160B
	buffer_load_dword v25, v13, s[32:35], 0 offen              // 000000004278: E0501000 8008190D
	buffer_load_dwordx4 a[64:67], v36, s[24:27], 0 offen       // 000000004280: E05C1000 80864024
	buffer_load_dwordx4 a[68:71], v36, s[24:27], 0 offen offset:1024// 000000004288: E05C1400 80864424
	buffer_load_dwordx4 a[72:75], v37, s[24:27], 0 offen       // 000000004290: E05C1000 80864825
	buffer_load_dwordx4 a[76:79], v37, s[24:27], 0 offen offset:1024// 000000004298: E05C1400 80864C25
	v_mul_f32_dpp v46, v23, v19 row_newbcast:0 row_mask:0xf bank_mask:0xf// 0000000042A0: 0A5C26FA FF015017
	v_mov_b32_e32 v47, v46                                     // 0000000042A8: 7E5E032E
	v_pk_fma_f32 v[96:97], v[104:105], v[46:47], v[96:97]      // 0000000042AC: D3B04060 1D825D68
	v_pk_fma_f32 v[98:99], v[106:107], v[46:47], v[98:99]      // 0000000042B4: D3B04062 1D8A5D6A
	v_pk_fma_f32 v[100:101], v[108:109], v[46:47], v[100:101]  // 0000000042BC: D3B04064 1D925D6C
	v_pk_fma_f32 v[102:103], v[110:111], v[46:47], v[102:103]  // 0000000042C4: D3B04066 1D9A5D6E
	s_waitcnt vmcnt(33)                                        // 0000000042CC: BF8C8F71
	v_mfma_f32_16x16x128_f8f6f4 v[104:107], a[144:151], v[152:159], 0// 0000000042D0: D3AD0068 0A033190
	s_waitcnt vmcnt(31)                                        // 0000000042D8: BF8C4F7F
	v_mfma_f32_16x16x128_f8f6f4 v[108:111], a[152:159], v[152:159], 0// 0000000042DC: D3AD006C 0A033198
	buffer_load_dwordx4 a[80:83], v36, s[24:27], 0 offen offset:2048// 0000000042E4: E05C1800 80865024
	buffer_load_dwordx4 a[84:87], v36, s[24:27], 0 offen offset:3072// 0000000042EC: E05C1C00 80865424
	buffer_load_dwordx4 a[88:91], v37, s[24:27], 0 offen offset:2048// 0000000042F4: E05C1800 80865825
	buffer_load_dwordx4 a[92:95], v37, s[24:27], 0 offen offset:3072// 0000000042FC: E05C1C00 80865C25
	v_mul_f32_dpp v46, v23, v20 row_newbcast:2 row_mask:0xf bank_mask:0xf// 000000004304: 0A5C28FA FF015217
	v_mov_b32_e32 v47, v46                                     // 00000000430C: 7E5E032E
	v_pk_fma_f32 v[96:97], v[104:105], v[46:47], v[96:97]      // 000000004310: D3B04060 1D825D68
	v_pk_fma_f32 v[98:99], v[106:107], v[46:47], v[98:99]      // 000000004318: D3B04062 1D8A5D6A
	v_pk_fma_f32 v[100:101], v[108:109], v[46:47], v[100:101]  // 000000004320: D3B04064 1D925D6C
	v_pk_fma_f32 v[102:103], v[110:111], v[46:47], v[102:103]  // 000000004328: D3B04066 1D9A5D6E
	s_add_u32 s60, 0x300, s80                                  // 000000004330: 803C50FF 00000300
	s_cmp_lt_u32 s60, s81                                      // 000000004338: BF0A513C
	s_cselect_b32 s4, s4, 0                                    // 00000000433C: 85048004
	s_add_u32 s32, s4, s32                                     // 000000004340: 80202004
	s_addc_u32 s33, 0, s33                                     // 000000004344: 82212180
	s_waitcnt vmcnt(21)                                        // 000000004348: BF8C4F75
	s_barrier                                                  // 00000000434C: BF8A0000
	v_mfma_f32_16x16x128_f8f6f4 v[104:107], a[160:167], v[144:151], 0// 000000004350: D3AD0068 0A0321A0
	s_waitcnt vmcnt(21)                                        // 000000004358: BF8C4F75
	v_mfma_f32_16x16x128_f8f6f4 v[108:111], a[168:175], v[144:151], 0// 00000000435C: D3AD006C 0A0321A8
	buffer_load_dwordx4 a[96:99], v36, s[92:95], 0 offen       // 000000004364: E05C1000 80976024
	buffer_load_dwordx4 a[100:103], v36, s[92:95], 0 offen offset:1024// 00000000436C: E05C1400 80976424
	buffer_load_dwordx4 a[104:107], v37, s[92:95], 0 offen     // 000000004374: E05C1000 80976825
	buffer_load_dwordx4 a[108:111], v37, s[92:95], 0 offen offset:1024// 00000000437C: E05C1400 80976C25
	s_waitcnt vmcnt(22)                                        // 000000004384: BF8C4F76
	v_mov_b32_e32 v30, 0                                       // 000000004388: 7E3C0280
	v_lshlrev_b32_e32 v46, 16, v112                            // 00000000438C: 245CE090
	v_and_b32_e32 v47, 0xffff0000, v112                        // 000000004390: 265EE0FF FFFF0000
	v_max3_f32 v30, |v47|, |v46|, v30                          // 000000004398: D1D3031E 047A5D2F
	v_lshlrev_b32_e32 v46, 16, v113                            // 0000000043A0: 245CE290
	v_and_b32_e32 v47, 0xffff0000, v113                        // 0000000043A4: 265EE2FF FFFF0000
	v_max3_f32 v30, |v47|, |v46|, v30                          // 0000000043AC: D1D3031E 047A5D2F
	v_lshlrev_b32_e32 v46, 16, v114                            // 0000000043B4: 245CE490
	v_and_b32_e32 v47, 0xffff0000, v114                        // 0000000043B8: 265EE4FF FFFF0000
	v_max3_f32 v30, |v47|, |v46|, v30                          // 0000000043C0: D1D3031E 047A5D2F
	v_lshlrev_b32_e32 v46, 16, v115                            // 0000000043C8: 245CE690
	v_and_b32_e32 v47, 0xffff0000, v115                        // 0000000043CC: 265EE6FF FFFF0000
	v_max3_f32 v30, |v47|, |v46|, v30                          // 0000000043D4: D1D3031E 047A5D2F
	v_lshlrev_b32_e32 v46, 16, v116                            // 0000000043DC: 245CE890
	v_and_b32_e32 v47, 0xffff0000, v116                        // 0000000043E0: 265EE8FF FFFF0000
	v_max3_f32 v30, |v47|, |v46|, v30                          // 0000000043E8: D1D3031E 047A5D2F
	v_lshlrev_b32_e32 v46, 16, v117                            // 0000000043F0: 245CEA90
	v_and_b32_e32 v47, 0xffff0000, v117                        // 0000000043F4: 265EEAFF FFFF0000
	v_max3_f32 v30, |v47|, |v46|, v30                          // 0000000043FC: D1D3031E 047A5D2F
	v_lshlrev_b32_e32 v46, 16, v118                            // 000000004404: 245CEC90
	v_and_b32_e32 v47, 0xffff0000, v118                        // 000000004408: 265EECFF FFFF0000
	v_max3_f32 v30, |v47|, |v46|, v30                          // 000000004410: D1D3031E 047A5D2F
	v_lshlrev_b32_e32 v46, 16, v119                            // 000000004418: 245CEE90
	v_and_b32_e32 v47, 0xffff0000, v119                        // 00000000441C: 265EEEFF FFFF0000
	v_max3_f32 v30, |v47|, |v46|, v30                          // 000000004424: D1D3031E 047A5D2F
	s_barrier                                                  // 00000000442C: BF8A0000
	v_max_f32_dpp v31, v30, v30 quad_perm:[1,2,3,0] row_mask:0xf bank_mask:0xf// 000000004430: 163E3CFA FF00391E
	s_nop 1                                                    // 000000004438: BF800001
	v_max_f32_dpp v46, v31, v31 quad_perm:[2,3,0,1] row_mask:0xf bank_mask:0xf// 00000000443C: 165C3EFA FF004E1F
	s_nop 1                                                    // 000000004444: BF800001
	v_max_f32_dpp v30, v46, v46 row_half_mirror row_mask:0xf bank_mask:0xf// 000000004448: 163C5CFA FF01412E
	v_rcp_f32_e32 v46, v30                                     // 000000004450: 7E5C451E
	v_mov_b32_e32 v47, 0x43e00000                              // 000000004454: 7E5E02FF 43E00000
	v_mul_f32_e32 v31, v47, v46                                // 00000000445C: 0A3E5D2F
	v_mov_b32_e32 v30, v31                                     // 000000004460: 7E3C031F
	v_lshlrev_b32_e32 v46, 16, v112                            // 000000004464: 245CE090
	v_and_b32_e32 v47, 0xffff0000, v112                        // 000000004468: 265EE0FF FFFF0000
	v_pk_mul_f32 v[46:47], v[46:47], v[30:31]                  // 000000004470: D3B1402E 18023D2E
	v_cvt_pk_fp8_f32 v112, v46, v47                            // 000000004478: D2A20070 00025F2E
	v_lshlrev_b32_e32 v46, 16, v113                            // 000000004480: 245CE290
	v_and_b32_e32 v47, 0xffff0000, v113                        // 000000004484: 265EE2FF FFFF0000
	v_pk_mul_f32 v[46:47], v[46:47], v[30:31]                  // 00000000448C: D3B1402E 18023D2E
	v_cvt_pk_fp8_f32 v112, v46, v47 op_sel:[0,0,1]             // 000000004494: D2A24070 00025F2E
	v_lshlrev_b32_e32 v46, 16, v114                            // 00000000449C: 245CE490
	v_and_b32_e32 v47, 0xffff0000, v114                        // 0000000044A0: 265EE4FF FFFF0000
	v_pk_mul_f32 v[46:47], v[46:47], v[30:31]                  // 0000000044A8: D3B1402E 18023D2E
	v_cvt_pk_fp8_f32 v113, v46, v47                            // 0000000044B0: D2A20071 00025F2E
	v_lshlrev_b32_e32 v46, 16, v115                            // 0000000044B8: 245CE690
	v_and_b32_e32 v47, 0xffff0000, v115                        // 0000000044BC: 265EE6FF FFFF0000
	v_pk_mul_f32 v[46:47], v[46:47], v[30:31]                  // 0000000044C4: D3B1402E 18023D2E
	v_cvt_pk_fp8_f32 v113, v46, v47 op_sel:[0,0,1]             // 0000000044CC: D2A24071 00025F2E
	v_lshlrev_b32_e32 v46, 16, v116                            // 0000000044D4: 245CE890
	v_and_b32_e32 v47, 0xffff0000, v116                        // 0000000044D8: 265EE8FF FFFF0000
	v_pk_mul_f32 v[46:47], v[46:47], v[30:31]                  // 0000000044E0: D3B1402E 18023D2E
	v_cvt_pk_fp8_f32 v114, v46, v47                            // 0000000044E8: D2A20072 00025F2E
	v_lshlrev_b32_e32 v46, 16, v117                            // 0000000044F0: 245CEA90
	v_and_b32_e32 v47, 0xffff0000, v117                        // 0000000044F4: 265EEAFF FFFF0000
	v_pk_mul_f32 v[46:47], v[46:47], v[30:31]                  // 0000000044FC: D3B1402E 18023D2E
	v_cvt_pk_fp8_f32 v114, v46, v47 op_sel:[0,0,1]             // 000000004504: D2A24072 00025F2E
	v_lshlrev_b32_e32 v46, 16, v118                            // 00000000450C: 245CEC90
	v_and_b32_e32 v47, 0xffff0000, v118                        // 000000004510: 265EECFF FFFF0000
	v_pk_mul_f32 v[46:47], v[46:47], v[30:31]                  // 000000004518: D3B1402E 18023D2E
	v_cvt_pk_fp8_f32 v115, v46, v47                            // 000000004520: D2A20073 00025F2E
	v_lshlrev_b32_e32 v46, 16, v119                            // 000000004528: 245CEE90
	v_and_b32_e32 v47, 0xffff0000, v119                        // 00000000452C: 265EEEFF FFFF0000
	v_pk_mul_f32 v[46:47], v[46:47], v[30:31]                  // 000000004534: D3B1402E 18023D2E
	v_cvt_pk_fp8_f32 v115, v46, v47 op_sel:[0,0,1]             // 00000000453C: D2A24073 00025F2E
	v_lshlrev_b32_e32 v46, 4, v0                               // 000000004544: 245C0084
	v_add_u32_e64 v46, v46, s50                                // 000000004548: D134002E 0000652E
	ds_write_b128 v46, v[112:115]                              // 000000004550: D9BE0000 0000702E
	v_rcp_f32_e32 v32, v31                                     // 000000004558: 7E40451F
	v_add_u32_e32 v46, 0, v33                                  // 00000000455C: 685C4280
	s_mov_b64 s[60:61], exec                                   // 000000004560: BEBC017E
	s_mov_b32 s62, 0xf0f0f0f                                   // 000000004564: BEBE00FF 0F0F0F0F
	s_mov_b32 s63, 0xf0f0f0f                                   // 00000000456C: BEBF00FF 0F0F0F0F
	s_mov_b64 exec, s[62:63]                                   // 000000004574: BEFE013E
	ds_write_b32 v46, v32 offset:4352                          // 000000004578: D81A1100 0000202E
	s_mov_b64 exec, s[60:61]                                   // 000000004580: BEFE013C
	v_mul_f32_dpp v46, v26, v19 row_newbcast:0 row_mask:0xf bank_mask:0xf// 000000004584: 0A5C26FA FF01501A
	v_mov_b32_e32 v47, v46                                     // 00000000458C: 7E5E032E
	v_pk_fma_f32 v[64:65], v[104:105], v[46:47], v[64:65]      // 000000004590: D3B04040 1D025D68
	v_pk_fma_f32 v[66:67], v[106:107], v[46:47], v[66:67]      // 000000004598: D3B04042 1D0A5D6A
	v_pk_fma_f32 v[68:69], v[108:109], v[46:47], v[68:69]      // 0000000045A0: D3B04044 1D125D6C
	v_pk_fma_f32 v[70:71], v[110:111], v[46:47], v[70:71]      // 0000000045A8: D3B04046 1D1A5D6E
	s_waitcnt vmcnt(23)                                        // 0000000045B0: BF8C4F77
	v_mfma_f32_16x16x128_f8f6f4 v[104:107], a[176:183], v[152:159], 0// 0000000045B4: D3AD0068 0A0331B0
	s_waitcnt lgkmcnt(0)                                       // 0000000045BC: BF8CC07F
	s_barrier                                                  // 0000000045C0: BF8A0000
	ds_read_b128 v[112:115], v2                                // 0000000045C4: D9FE0000 70000002
	ds_read_b128 v[116:119], v2 offset:64                      // 0000000045CC: D9FE0040 74000002
	ds_read_b128 v[120:123], v2 offset:512                     // 0000000045D4: D9FE0200 78000002
	ds_read_b128 v[124:127], v2 offset:576                     // 0000000045DC: D9FE0240 7C000002
	ds_read_b32 v15, v3 offset:4352                            // 0000000045E4: D86C1100 0F000003
	ds_read_b32 v16, v3 offset:4608                            // 0000000045EC: D86C1200 10000003
	s_waitcnt vmcnt(21)                                        // 0000000045F4: BF8C4F75
	v_mfma_f32_16x16x128_f8f6f4 v[108:111], a[184:191], v[152:159], 0// 0000000045F8: D3AD006C 0A0331B8
	buffer_load_dwordx4 a[112:115], v36, s[92:95], 0 offen offset:2048// 000000004600: E05C1800 80977024
	buffer_load_dwordx4 a[116:119], v36, s[92:95], 0 offen offset:3072// 000000004608: E05C1C00 80977424
	buffer_load_dwordx4 a[120:123], v37, s[92:95], 0 offen offset:2048// 000000004610: E05C1800 80977825
	buffer_load_dwordx4 a[124:127], v37, s[92:95], 0 offen offset:3072// 000000004618: E05C1C00 80977C25
	v_mul_f32_dpp v46, v26, v20 row_newbcast:2 row_mask:0xf bank_mask:0xf// 000000004620: 0A5C28FA FF01521A
	v_mov_b32_e32 v47, v46                                     // 000000004628: 7E5E032E
	v_pk_fma_f32 v[64:65], v[104:105], v[46:47], v[64:65]      // 00000000462C: D3B04040 1D025D68
	v_pk_fma_f32 v[66:67], v[106:107], v[46:47], v[66:67]      // 000000004634: D3B04042 1D0A5D6A
	v_pk_fma_f32 v[68:69], v[108:109], v[46:47], v[68:69]      // 00000000463C: D3B04044 1D125D6C
	v_pk_fma_f32 v[70:71], v[110:111], v[46:47], v[70:71]      // 000000004644: D3B04046 1D1A5D6E
	s_add_u32 s60, 0x300, s80                                  // 00000000464C: 803C50FF 00000300
	s_cmp_lt_u32 s60, s81                                      // 000000004654: BF0A513C
	s_cselect_b32 s57, s57, 0                                  // 000000004658: 85398039
	s_add_u32 s60, 0x300, s80                                  // 00000000465C: 803C50FF 00000300
	s_cmp_lt_u32 s60, s81                                      // 000000004664: BF0A513C
	s_cselect_b32 s58, s58, 0                                  // 000000004668: 853A803A
	s_cselect_b32 s90, s90, 0                                  // 00000000466C: 855A805A
	s_add_u32 s20, s57, s20                                    // 000000004670: 80141439
	s_addc_u32 s21, 0, s21                                     // 000000004674: 82151580
	s_add_u32 s24, s58, s24                                    // 000000004678: 8018183A
	s_addc_u32 s25, 0, s25                                     // 00000000467C: 82191980
	s_add_u32 s92, s90, s92                                    // 000000004680: 805C5C5A
	s_addc_u32 s93, 0, s93                                     // 000000004684: 825D5D80
	s_addk_i32 s80, 0x100                                      // 000000004688: B7500100
	s_cmp_lt_i32 s80, s81                                      // 00000000468C: BF045150
	s_cbranch_scc0 label_0626                                  // 000000004690: BF840001
	s_branch label_02E9                                        // 000000004694: BF82FCC3

0000000000004698 <label_0626>:
	s_mov_b32 s20, 0                                           // 000000004698: BE940080
	s_cmp_lt_u32 s89, s66                                      // 00000000469C: BF0A4259
	s_cselect_b32 s60, 0, 1                                    // 0000000046A0: 853C8180
	s_lshl1_add_u32 s20, s20, s60                              // 0000000046A4: 97143C14
	s_cmp_lt_u32 s88, s66                                      // 0000000046A8: BF0A4258
	s_cselect_b32 s60, 0, 1                                    // 0000000046AC: 853C8180
	s_lshl1_add_u32 s20, s20, s60                              // 0000000046B0: 97143C14
	s_cmp_lt_u32 s87, s66                                      // 0000000046B4: BF0A4257
	s_cselect_b32 s60, 0, 1                                    // 0000000046B8: 853C8180
	s_lshl1_add_u32 s20, s20, s60                              // 0000000046BC: 97143C14
	s_cmp_lt_u32 s86, s66                                      // 0000000046C0: BF0A4256
	s_cselect_b32 s60, 0, 1                                    // 0000000046C4: 853C8180
	s_lshl1_add_u32 s20, s20, s60                              // 0000000046C8: 97143C14
	s_cmp_lt_u32 s85, s66                                      // 0000000046CC: BF0A4255
	s_cselect_b32 s60, 0, 1                                    // 0000000046D0: 853C8180
	s_lshl1_add_u32 s20, s20, s60                              // 0000000046D4: 97143C14
	s_cmp_lt_u32 s84, s66                                      // 0000000046D8: BF0A4254
	s_cselect_b32 s60, 0, 1                                    // 0000000046DC: 853C8180
	s_lshl1_add_u32 s20, s20, s60                              // 0000000046E0: 97143C14
	s_cmp_lt_u32 s83, s66                                      // 0000000046E4: BF0A4253
	s_cselect_b32 s60, 0, 1                                    // 0000000046E8: 853C8180
	s_lshl1_add_u32 s20, s20, s60                              // 0000000046EC: 97143C14
	s_cmp_lt_u32 s82, s66                                      // 0000000046F0: BF0A4252
	s_cselect_b32 s60, 0, 1                                    // 0000000046F4: 853C8180
	s_lshl1_add_u32 s20, s20, s60                              // 0000000046F8: 97143C14
	s_waitcnt vmcnt(4)                                         // 0000000046FC: BF8C0F74
	buffer_load_dword v21, v6, s[16:19], 0 offen               // 000000004700: E0501000 80041506
	s_add_u32 s16, s79, s16                                    // 000000004708: 8010104F
	s_addc_u32 s17, 0, s17                                     // 00000000470C: 82111180
	buffer_load_dwordx4 a[0:3], v38, s[12:15], 0 offen         // 000000004710: E05C1000 80830026
	buffer_load_dwordx4 a[4:7], v38, s[12:15], 0 offen offset:1024// 000000004718: E05C1400 80830426
	buffer_load_dwordx4 a[8:11], v39, s[12:15], 0 offen        // 000000004720: E05C1000 80830827
	buffer_load_dwordx4 a[12:15], v39, s[12:15], 0 offen offset:1024// 000000004728: E05C1400 80830C27
	v_mul_f32_e64 v46, -v96, s6                                // 000000004730: D105002E 20000D60
	v_mul_f32_e64 v47, -v97, s6                                // 000000004738: D105002F 20000D61
	v_mul_f32_e64 v48, -v98, s6                                // 000000004740: D1050030 20000D62
	v_mul_f32_e64 v49, -v99, s6                                // 000000004748: D1050031 20000D63
	v_exp_f32_e32 v46, v46                                     // 000000004750: 7E5C412E
	v_exp_f32_e32 v47, v47                                     // 000000004754: 7E5E412F
	v_exp_f32_e32 v48, v48                                     // 000000004758: 7E604130
	v_exp_f32_e32 v49, v49                                     // 00000000475C: 7E624131
	buffer_load_dwordx4 a[16:19], v40, s[12:15], 0 offen       // 000000004760: E05C1000 80831028
	buffer_load_dwordx4 a[20:23], v40, s[12:15], 0 offen offset:1024// 000000004768: E05C1400 80831428
	buffer_load_dwordx4 a[24:27], v41, s[12:15], 0 offen       // 000000004770: E05C1000 80831829
	buffer_load_dwordx4 a[28:31], v41, s[12:15], 0 offen offset:1024// 000000004778: E05C1400 80831C29
	s_add_u32 s12, s56, s12                                    // 000000004780: 800C0C38
	s_addc_u32 s13, 0, s13                                     // 000000004784: 820D0D80
	v_add_f32_e64 v46, v46, 1.0                                // 000000004788: D101002E 0001E52E
	v_add_f32_e64 v47, v47, 1.0                                // 000000004790: D101002F 0001E52F
	v_add_f32_e64 v48, v48, 1.0                                // 000000004798: D1010030 0001E530
	v_add_f32_e64 v49, v49, 1.0                                // 0000000047A0: D1010031 0001E531
	v_rcp_f32_e32 v46, v46                                     // 0000000047A8: 7E5C452E
	v_rcp_f32_e32 v47, v47                                     // 0000000047AC: 7E5E452F
	v_rcp_f32_e32 v48, v48                                     // 0000000047B0: 7E604530
	v_rcp_f32_e32 v49, v49                                     // 0000000047B4: 7E624531
	v_mul_f32_e32 v96, v96, v46                                // 0000000047B8: 0AC05D60
	v_mul_f32_e32 v97, v97, v47                                // 0000000047BC: 0AC25F61
	v_mul_f32_e32 v98, v98, v48                                // 0000000047C0: 0AC46162
	v_mul_f32_e32 v99, v99, v49                                // 0000000047C4: 0AC66363
	v_mul_f32_e32 v96, v96, v64                                // 0000000047C8: 0AC08160
	v_mul_f32_e32 v97, v97, v65                                // 0000000047CC: 0AC28361
	v_mul_f32_e32 v98, v98, v66                                // 0000000047D0: 0AC48562
	v_mul_f32_e32 v99, v99, v67                                // 0000000047D4: 0AC68763
	s_waitcnt vmcnt(4)                                         // 0000000047D8: BF8C0F74
	buffer_load_dword v22, v6, s[16:19], 0 offen               // 0000000047DC: E0501000 80041606
	s_add_u32 s16, s79, s16                                    // 0000000047E4: 8010104F
	s_addc_u32 s17, 0, s17                                     // 0000000047E8: 82111180
	buffer_load_dwordx4 a[32:35], v38, s[12:15], 0 offen       // 0000000047EC: E05C1000 80832026
	buffer_load_dwordx4 a[36:39], v38, s[12:15], 0 offen offset:1024// 0000000047F4: E05C1400 80832426
	buffer_load_dwordx4 a[40:43], v39, s[12:15], 0 offen       // 0000000047FC: E05C1000 80832827
	buffer_load_dwordx4 a[44:47], v39, s[12:15], 0 offen offset:1024// 000000004804: E05C1400 80832C27
	v_mul_f32_e64 v46, -v100, s6                               // 00000000480C: D105002E 20000D64
	v_mul_f32_e64 v47, -v101, s6                               // 000000004814: D105002F 20000D65
	v_mul_f32_e64 v48, -v102, s6                               // 00000000481C: D1050030 20000D66
	v_mul_f32_e64 v49, -v103, s6                               // 000000004824: D1050031 20000D67
	v_exp_f32_e32 v46, v46                                     // 00000000482C: 7E5C412E
	v_exp_f32_e32 v47, v47                                     // 000000004830: 7E5E412F
	v_exp_f32_e32 v48, v48                                     // 000000004834: 7E604130
	v_exp_f32_e32 v49, v49                                     // 000000004838: 7E624131
	buffer_load_dwordx4 a[48:51], v40, s[12:15], 0 offen       // 00000000483C: E05C1000 80833028
	buffer_load_dwordx4 a[52:55], v40, s[12:15], 0 offen offset:1024// 000000004844: E05C1400 80833428
	buffer_load_dwordx4 a[56:59], v41, s[12:15], 0 offen       // 00000000484C: E05C1000 80833829
	buffer_load_dwordx4 a[60:63], v41, s[12:15], 0 offen offset:1024// 000000004854: E05C1400 80833C29
	s_add_u32 s12, s56, s12                                    // 00000000485C: 800C0C38
	s_addc_u32 s13, 0, s13                                     // 000000004860: 820D0D80
	v_add_f32_e64 v46, v46, 1.0                                // 000000004864: D101002E 0001E52E
	v_add_f32_e64 v47, v47, 1.0                                // 00000000486C: D101002F 0001E52F
	v_add_f32_e64 v48, v48, 1.0                                // 000000004874: D1010030 0001E530
	v_add_f32_e64 v49, v49, 1.0                                // 00000000487C: D1010031 0001E531
	v_rcp_f32_e32 v46, v46                                     // 000000004884: 7E5C452E
	v_rcp_f32_e32 v47, v47                                     // 000000004888: 7E5E452F
	v_rcp_f32_e32 v48, v48                                     // 00000000488C: 7E604530
	v_rcp_f32_e32 v49, v49                                     // 000000004890: 7E624531
	v_mul_f32_e32 v100, v100, v46                              // 000000004894: 0AC85D64
	v_mul_f32_e32 v101, v101, v47                              // 000000004898: 0ACA5F65
	v_mul_f32_e32 v102, v102, v48                              // 00000000489C: 0ACC6166
	v_mul_f32_e32 v103, v103, v49                              // 0000000048A0: 0ACE6367
	v_mul_f32_e32 v100, v100, v68                              // 0000000048A4: 0AC88964
	v_mul_f32_e32 v101, v101, v69                              // 0000000048A8: 0ACA8B65
	v_mul_f32_e32 v102, v102, v70                              // 0000000048AC: 0ACC8D66
	v_mul_f32_e32 v103, v103, v71                              // 0000000048B0: 0ACE8F67
	v_lshlrev_b32_e32 v46, 2, v0                               // 0000000048B4: 245C0082
	s_mul_i32 s60, s82, s71                                    // 0000000048B8: 923C4752
	v_add_u32_e64 v80, v46, s60                                // 0000000048BC: D1340050 0000792E
	v_mov_b32_e32 v81, 0                                       // 0000000048C4: 7EA20280
	s_mul_i32 s60, s83, s71                                    // 0000000048C8: 923C4753
	v_add_u32_e64 v82, v46, s60                                // 0000000048CC: D1340052 0000792E
	v_mov_b32_e32 v83, 0                                       // 0000000048D4: 7EA60280
	s_mul_i32 s60, s84, s71                                    // 0000000048D8: 923C4754
	v_add_u32_e64 v84, v46, s60                                // 0000000048DC: D1340054 0000792E
	v_mov_b32_e32 v85, 0                                       // 0000000048E4: 7EAA0280
	s_mul_i32 s60, s85, s71                                    // 0000000048E8: 923C4755
	v_add_u32_e64 v86, v46, s60                                // 0000000048EC: D1340056 0000792E
	v_mov_b32_e32 v87, 0                                       // 0000000048F4: 7EAE0280
	v_mov_b32_e32 v30, 0x358637bd                              // 0000000048F8: 7E3C02FF 358637BD
	v_max3_f32 v30, |v96|, |v97|, v30                          // 000000004900: D1D3031E 047AC360
	v_max3_f32 v30, |v98|, |v99|, v30                          // 000000004908: D1D3031E 047AC762
	v_max3_f32 v30, |v100|, |v101|, v30                        // 000000004910: D1D3031E 047ACB64
	v_max3_f32 v30, |v102|, |v103|, v30                        // 000000004918: D1D3031E 047ACF66
	v_mov_b32_e32 v46, v30                                     // 000000004920: 7E5C031E
	s_nop 1                                                    // 000000004924: BF800001
	v_permlane32_swap_b32_e32 v46, v30                         // 000000004928: 7E5CB51E
	v_max_f32_e32 v30, v46, v30                                // 00000000492C: 163C3D2E
	v_mov_b32_e32 v46, v30                                     // 000000004930: 7E5C031E
	s_nop 1                                                    // 000000004934: BF800001
	v_permlane16_swap_b32_e32 v46, v30                         // 000000004938: 7E5CB31E
	v_max_f32_e32 v30, v46, v30                                // 00000000493C: 163C3D2E
	v_lshlrev_b32_e32 v46, 2, v0                               // 000000004940: 245C0082
	s_mul_i32 s60, 64, s7                                      // 000000004944: 923C07C0
	v_add_u32_e32 v46, s60, v46                                // 000000004948: 685C5C3C
	s_mov_b32 s60, 0xffff                                      // 00000000494C: BEBC00FF 0000FFFF
	s_mov_b32 s61, 0                                           // 000000004954: BEBD0080
	s_mov_b64 exec, s[60:61]                                   // 000000004958: BEFE013C
	ds_write_b32 v46, v30 offset:16128                         // 00000000495C: D81A3F00 00001E2E
	s_mov_b32 s60, -1                                          // 000000004964: BEBC00C1
	s_mov_b32 s61, -1                                          // 000000004968: BEBD00C1
	s_mov_b64 exec, s[60:61]                                   // 00000000496C: BEFE013C
	s_waitcnt lgkmcnt(0)                                       // 000000004970: BF8CC07F
	s_barrier                                                  // 000000004974: BF8A0000
	v_lshlrev_b32_e32 v46, 2, v0                               // 000000004978: 245C0082
	ds_read_b32 v104, v46 offset:16128                         // 00000000497C: D86C3F00 6800002E
	s_waitcnt lgkmcnt(0)                                       // 000000004984: BF8CC07F
	v_mov_b32_e32 v46, v104                                    // 000000004988: 7E5C0368
	s_nop 1                                                    // 00000000498C: BF800001
	v_permlane32_swap_b32_e32 v46, v104                        // 000000004990: 7E5CB568
	v_max_f32_e32 v104, v46, v104                              // 000000004994: 16D0D12E
	v_mov_b32_e32 v46, v104                                    // 000000004998: 7E5C0368
	s_nop 1                                                    // 00000000499C: BF800001
	v_permlane16_swap_b32_e32 v46, v104                        // 0000000049A0: 7E5CB368
	v_max_f32_e32 v104, v46, v104                              // 0000000049A4: 16D0D12E
	v_max_f32_e32 v30, v104, v30                               // 0000000049A8: 163C3D68
	v_rcp_f32_e32 v30, v30                                     // 0000000049AC: 7E3C451E
	v_mov_b32_e32 v46, 0x43e00000                              // 0000000049B0: 7E5C02FF 43E00000
	v_mul_f32_e32 v30, v46, v30                                // 0000000049B8: 0A3C3D2E
	v_mul_f32_e32 v96, v30, v96                                // 0000000049BC: 0AC0C11E
	v_mul_f32_e32 v97, v30, v97                                // 0000000049C0: 0AC2C31E
	v_mul_f32_e32 v98, v30, v98                                // 0000000049C4: 0AC4C51E
	v_mul_f32_e32 v99, v30, v99                                // 0000000049C8: 0AC6C71E
	v_cvt_pk_fp8_f32 v96, v96, v97                             // 0000000049CC: D2A20060 0002C360
	v_cvt_pk_fp8_f32 v96, v98, v99 op_sel:[0,0,1]              // 0000000049D4: D2A24060 0002C762
	v_mul_f32_e32 v100, v30, v100                              // 0000000049DC: 0AC8C91E
	v_mul_f32_e32 v101, v30, v101                              // 0000000049E0: 0ACACB1E
	v_mul_f32_e32 v102, v30, v102                              // 0000000049E4: 0ACCCD1E
	v_mul_f32_e32 v103, v30, v103                              // 0000000049E8: 0ACECF1E
	v_cvt_pk_fp8_f32 v97, v100, v101                           // 0000000049EC: D2A20061 0002CB64
	v_cvt_pk_fp8_f32 v97, v102, v103 op_sel:[0,0,1]            // 0000000049F4: D2A24061 0002CF66
	v_rcp_f32_e32 v32, v30                                     // 0000000049FC: 7E40451E
	v_nop                                                      // 000000004A00: 7E000000
	v_lshrrev_b32_e32 v46, 5, v0                               // 000000004A04: 205C0085
	v_lshlrev_b32_e32 v47, 6, v46                              // 000000004A08: 245E5C86
	v_and_b32_e32 v46, 31, v0                                  // 000000004A0C: 265C009F
	v_lshrrev_b32_e32 v48, 4, v46                              // 000000004A10: 20605C84
	v_add_u32_e32 v47, v48, v47                                // 000000004A14: 685E5F30
	v_and_b32_e32 v46, 15, v0                                  // 000000004A18: 265C008F
	v_lshlrev_b32_e32 v46, 1, v46                              // 000000004A1C: 245C5C81
	v_add_u32_e32 v47, v46, v47                                // 000000004A20: 685E5F2E
	v_lshlrev_b32_e32 v46, 2, v47                              // 000000004A24: 245C5E82
	s_mov_b32 s60, 0                                           // 000000004A28: BEBC0080
	s_lshr_b32 s61, s7, 1                                      // 000000004A2C: 8F3D8107
	s_mul_i32 s61, s61, 0x200                                  // 000000004A30: 923DFF3D 00000200
	s_add_u32 s60, s61, s60                                    // 000000004A38: 803C3C3D
	s_and_b32 s61, s7, 1                                       // 000000004A3C: 863D8107
	s_mul_i32 s61, s61, 0x80                                   // 000000004A40: 923DFF3D 00000080
	s_add_u32 s60, s61, s60                                    // 000000004A48: 803C3C3D
	v_add_u32_e64 v46, v46, s60                                // 000000004A4C: D134002E 0000792E
	ds_write_b32 v46, v96 offset:17152                         // 000000004A54: D81A4300 0000602E
	ds_write_b32 v46, v97 offset:18176                         // 000000004A5C: D81A4700 0000612E
	s_waitcnt lgkmcnt(0)                                       // 000000004A64: BF8CC07F
	s_barrier                                                  // 000000004A68: BF8A0000
	v_and_b32_e32 v46, 31, v0                                  // 000000004A6C: 265C009F
	v_lshrrev_b32_e32 v46, 4, v46                              // 000000004A70: 205C5C84
	v_lshlrev_b32_e32 v47, 5, v46                              // 000000004A74: 245E5C85
	v_lshrrev_b32_e32 v46, 5, v0                               // 000000004A78: 205C0085
	v_lshlrev_b32_e32 v46, 7, v46                              // 000000004A7C: 245C5C87
	v_add_u32_e32 v47, v46, v47                                // 000000004A80: 685E5F2E
	v_and_b32_e32 v46, 15, v0                                  // 000000004A84: 265C008F
	v_lshlrev_b32_e32 v46, 1, v46                              // 000000004A88: 245C5C81
	v_add_u32_e32 v47, v46, v47                                // 000000004A8C: 685E5F2E
	v_lshlrev_b32_e32 v46, 2, v47                              // 000000004A90: 245C5E82
	ds_read_b64 v[96:97], v46 offset:17152                     // 000000004A94: D8EC4300 6000002E
	ds_read_b64 v[98:99], v46 offset:17408                     // 000000004A9C: D8EC4400 6200002E
	ds_read_b64 v[100:101], v46 offset:18176                   // 000000004AA4: D8EC4700 6400002E
	ds_read_b64 v[102:103], v46 offset:18432                   // 000000004AAC: D8EC4800 6600002E
	s_waitcnt lgkmcnt(0)                                       // 000000004AB4: BF8CC07F
	s_barrier                                                  // 000000004AB8: BF8A0000
	v_mov_b32_e32 v112, 0                                      // 000000004ABC: 7EE00280
	v_mov_b32_e32 v128, 0                                      // 000000004AC0: 7F000280
	v_mov_b32_e32 v113, 0                                      // 000000004AC4: 7EE20280
	v_mov_b32_e32 v129, 0                                      // 000000004AC8: 7F020280
	v_mov_b32_e32 v114, 0                                      // 000000004ACC: 7EE40280
	v_mov_b32_e32 v130, 0                                      // 000000004AD0: 7F040280
	v_mov_b32_e32 v115, 0                                      // 000000004AD4: 7EE60280
	v_mov_b32_e32 v131, 0                                      // 000000004AD8: 7F060280
	v_mov_b32_e32 v116, 0                                      // 000000004ADC: 7EE80280
	v_mov_b32_e32 v132, 0                                      // 000000004AE0: 7F080280
	v_mov_b32_e32 v117, 0                                      // 000000004AE4: 7EEA0280
	v_mov_b32_e32 v133, 0                                      // 000000004AE8: 7F0A0280
	v_mov_b32_e32 v118, 0                                      // 000000004AEC: 7EEC0280
	v_mov_b32_e32 v134, 0                                      // 000000004AF0: 7F0C0280
	v_mov_b32_e32 v119, 0                                      // 000000004AF4: 7EEE0280
	v_mov_b32_e32 v135, 0                                      // 000000004AF8: 7F0E0280
	v_mov_b32_e32 v120, 0                                      // 000000004AFC: 7EF00280
	v_mov_b32_e32 v136, 0                                      // 000000004B00: 7F100280
	v_mov_b32_e32 v121, 0                                      // 000000004B04: 7EF20280
	v_mov_b32_e32 v137, 0                                      // 000000004B08: 7F120280
	v_mov_b32_e32 v122, 0                                      // 000000004B0C: 7EF40280
	v_mov_b32_e32 v138, 0                                      // 000000004B10: 7F140280
	v_mov_b32_e32 v123, 0                                      // 000000004B14: 7EF60280
	v_mov_b32_e32 v139, 0                                      // 000000004B18: 7F160280
	v_mov_b32_e32 v124, 0                                      // 000000004B1C: 7EF80280
	v_mov_b32_e32 v140, 0                                      // 000000004B20: 7F180280
	v_mov_b32_e32 v125, 0                                      // 000000004B24: 7EFA0280
	v_mov_b32_e32 v141, 0                                      // 000000004B28: 7F1A0280
	v_mov_b32_e32 v126, 0                                      // 000000004B2C: 7EFC0280
	v_mov_b32_e32 v142, 0                                      // 000000004B30: 7F1C0280
	v_mov_b32_e32 v127, 0                                      // 000000004B34: 7EFE0280
	v_mov_b32_e32 v143, 0                                      // 000000004B38: 7F1E0280
	ds_write_b64 v4, v[112:113] offset:17152                   // 000000004B3C: D89A4300 00007004
	ds_write_b64 v4, v[114:115] offset:19328                   // 000000004B44: D89A4B80 00007204
	ds_write_b64 v4, v[116:117] offset:21504                   // 000000004B4C: D89A5400 00007404
	ds_write_b64 v4, v[118:119] offset:23680                   // 000000004B54: D89A5C80 00007604
	s_mov_b32 s80, 0                                           // 000000004B5C: BED00080

0000000000004b60 <label_0758>:
	s_waitcnt vmcnt(13) lgkmcnt(0)                             // 000000004B60: BF8C007D
	s_barrier                                                  // 000000004B64: BF8A0000
	v_mfma_f32_16x16x128_f8f6f4 v[112:115], a[0:7], v[96:103], 0// 000000004B68: D3AD0070 0A02C100
	ds_read_b32 v64, v5 offset:17152                           // 000000004B70: D86C4300 40000005
	ds_read_b32 v65, v5 offset:21504                           // 000000004B78: D86C5400 41000005
	ds_read_b32 v66, v5 offset:17160                           // 000000004B80: D86C4308 42000005
	ds_read_b32 v67, v5 offset:21512                           // 000000004B88: D86C5408 43000005
	ds_read_b32 v68, v5 offset:17184                           // 000000004B90: D86C4320 44000005
	ds_read_b32 v69, v5 offset:21536                           // 000000004B98: D86C5420 45000005
	ds_read_b32 v70, v5 offset:17192                           // 000000004BA0: D86C4328 46000005
	ds_read_b32 v71, v5 offset:21544                           // 000000004BA8: D86C5428 47000005
	v_mfma_f32_16x16x128_f8f6f4 v[116:119], a[8:15], v[96:103], 0// 000000004BB0: D3AD0074 0A02C108
	buffer_load_dword v23, v6, s[16:19], 0 offen               // 000000004BB8: E0501000 80041706
	buffer_load_dwordx4 a[64:67], v38, s[12:15], 0 offen       // 000000004BC0: E05C1000 80834026
	buffer_load_dwordx4 a[68:71], v38, s[12:15], 0 offen offset:1024// 000000004BC8: E05C1400 80834426
	buffer_load_dwordx4 a[72:75], v39, s[12:15], 0 offen       // 000000004BD0: E05C1000 80834827
	buffer_load_dwordx4 a[76:79], v39, s[12:15], 0 offen offset:1024// 000000004BD8: E05C1400 80834C27
	s_waitcnt vmcnt(13)                                        // 000000004BE0: BF8C0F7D
	v_mfma_f32_16x16x128_f8f6f4 v[120:123], a[16:23], v[96:103], 0// 000000004BE4: D3AD0078 0A02C110
	ds_write_b64 v4, v[128:129] offset:34560                   // 000000004BEC: D89A8700 00008004
	ds_write_b64 v4, v[130:131] offset:36736                   // 000000004BF4: D89A8F80 00008204
	ds_write_b64 v4, v[132:133] offset:38912                   // 000000004BFC: D89A9800 00008404
	ds_write_b64 v4, v[134:135] offset:41088                   // 000000004C04: D89AA080 00008604
	v_mfma_f32_16x16x128_f8f6f4 v[124:127], a[24:31], v[96:103], 0// 000000004C0C: D3AD007C 0A02C118
	buffer_load_dwordx4 a[80:83], v40, s[12:15], 0 offen       // 000000004C14: E05C1000 80835028
	buffer_load_dwordx4 a[84:87], v40, s[12:15], 0 offen offset:1024// 000000004C1C: E05C1400 80835428
	buffer_load_dwordx4 a[88:91], v41, s[12:15], 0 offen       // 000000004C24: E05C1000 80835829
	buffer_load_dwordx4 a[92:95], v41, s[12:15], 0 offen offset:1024// 000000004C2C: E05C1400 80835C29
	v_mul_f32_dpp v46, v21, v32 row_newbcast:0 row_mask:0xf bank_mask:0xf// 000000004C34: 0A5C40FA FF015015
	v_mov_b32_e32 v47, v46                                     // 000000004C3C: 7E5E032E
	v_pk_mul_f32 v[112:113], v[46:47], v[112:113]              // 000000004C40: D3B14070 1802E12E
	v_pk_mul_f32 v[114:115], v[46:47], v[114:115]              // 000000004C48: D3B14072 1802E52E
	v_pk_mul_f32 v[116:117], v[46:47], v[116:117]              // 000000004C50: D3B14074 1802E92E
	v_pk_mul_f32 v[118:119], v[46:47], v[118:119]              // 000000004C58: D3B14076 1802ED2E
	v_mul_f32_dpp v46, v21, v32 row_newbcast:1 row_mask:0xf bank_mask:0xf// 000000004C60: 0A5C40FA FF015115
	v_mov_b32_e32 v47, v46                                     // 000000004C68: 7E5E032E
	v_pk_mul_f32 v[120:121], v[46:47], v[120:121]              // 000000004C6C: D3B14078 1802F12E
	v_pk_mul_f32 v[122:123], v[46:47], v[122:123]              // 000000004C74: D3B1407A 1802F52E
	v_pk_mul_f32 v[124:125], v[46:47], v[124:125]              // 000000004C7C: D3B1407C 1802F92E
	v_pk_mul_f32 v[126:127], v[46:47], v[126:127]              // 000000004C84: D3B1407E 1802FD2E
	s_add_u32 s60, 0x300, s80                                  // 000000004C8C: 803C50FF 00000300
	s_cmp_lt_u32 s60, s81                                      // 000000004C94: BF0A513C
	s_cselect_b32 s56, s56, 0                                  // 000000004C98: 85388038
	s_cselect_b32 s78, s78, 0                                  // 000000004C9C: 854E804E
	s_cselect_b32 s79, s79, 0                                  // 000000004CA0: 854F804F
	s_add_u32 s12, s56, s12                                    // 000000004CA4: 800C0C38
	s_addc_u32 s13, 0, s13                                     // 000000004CA8: 820D0D80
	s_add_u32 s16, s79, s16                                    // 000000004CAC: 8010104F
	s_addc_u32 s17, 0, s17                                     // 000000004CB0: 82111180
	v_mov_b32_e32 v46, v27                                     // 000000004CB4: 7E5C031B
	v_mov_b32_e32 v47, v27                                     // 000000004CB8: 7E5E031B
	v_pk_mul_f32 v[112:113], v[46:47], v[112:113]              // 000000004CBC: D3B14070 1802E12E
	v_pk_mul_f32 v[114:115], v[46:47], v[114:115]              // 000000004CC4: D3B14072 1802E52E
	v_pk_mul_f32 v[116:117], v[46:47], v[116:117]              // 000000004CCC: D3B14074 1802E92E
	v_pk_mul_f32 v[118:119], v[46:47], v[118:119]              // 000000004CD4: D3B14076 1802ED2E
	v_pk_mul_f32 v[120:121], v[46:47], v[120:121]              // 000000004CDC: D3B14078 1802F12E
	v_pk_mul_f32 v[122:123], v[46:47], v[122:123]              // 000000004CE4: D3B1407A 1802F52E
	v_pk_mul_f32 v[124:125], v[46:47], v[124:125]              // 000000004CEC: D3B1407C 1802F92E
	v_pk_mul_f32 v[126:127], v[46:47], v[126:127]              // 000000004CF4: D3B1407E 1802FD2E
	v_cvt_pk_bf16_f32 v112, v112, v113                         // 000000004CFC: D2680070 0002E370
	v_cvt_pk_bf16_f32 v113, v114, v115                         // 000000004D04: D2680071 0002E772
	v_cvt_pk_bf16_f32 v114, v116, v117                         // 000000004D0C: D2680072 0002EB74
	v_cvt_pk_bf16_f32 v115, v118, v119                         // 000000004D14: D2680073 0002EF76
	v_cvt_pk_bf16_f32 v116, v120, v121                         // 000000004D1C: D2680074 0002F378
	v_cvt_pk_bf16_f32 v117, v122, v123                         // 000000004D24: D2680075 0002F77A
	v_cvt_pk_bf16_f32 v118, v124, v125                         // 000000004D2C: D2680076 0002FB7C
	v_cvt_pk_bf16_f32 v119, v126, v127                         // 000000004D34: D2680077 0002FF7E
	s_cmp_ge_u32 s80, 0x200                                    // 000000004D3C: BF09FF50 00000200
	s_cselect_b32 s59, 0x200, s59                              // 000000004D44: 853B3BFF 00000200
	s_waitcnt lgkmcnt(0)                                       // 000000004D4C: BF8CC07F
	s_barrier                                                  // 000000004D50: BF8A0000
	s_setvskip s20, 0                                          // 000000004D54: BF108014
	global_atomic_pk_add_bf16 v80, v64, s[8:9]                 // 000000004D58: DD488000 00084050
	s_setvskip 0, 0                                            // 000000004D60: BF108080
	s_setvskip s20, 0                                          // 000000004D64: BF108014
	global_atomic_pk_add_bf16 v80, v65, s[8:9] offset:256      // 000000004D68: DD488100 00084150
	s_setvskip 0, 0                                            // 000000004D70: BF108080
	s_setvskip s20, 1                                          // 000000004D74: BF108114
	global_atomic_pk_add_bf16 v82, v66, s[8:9]                 // 000000004D78: DD488000 00084252
	s_setvskip 0, 0                                            // 000000004D80: BF108080
	s_setvskip s20, 1                                          // 000000004D84: BF108114
	global_atomic_pk_add_bf16 v82, v67, s[8:9] offset:256      // 000000004D88: DD488100 00084352
	s_setvskip 0, 0                                            // 000000004D90: BF108080
	s_setvskip s20, 2                                          // 000000004D94: BF108214
	global_atomic_pk_add_bf16 v84, v68, s[8:9]                 // 000000004D98: DD488000 00084454
	s_setvskip 0, 0                                            // 000000004DA0: BF108080
	s_setvskip s20, 2                                          // 000000004DA4: BF108214
	global_atomic_pk_add_bf16 v84, v69, s[8:9] offset:256      // 000000004DA8: DD488100 00084554
	s_setvskip 0, 0                                            // 000000004DB0: BF108080
	s_setvskip s20, 3                                          // 000000004DB4: BF108314
	global_atomic_pk_add_bf16 v86, v70, s[8:9]                 // 000000004DB8: DD488000 00084656
	s_setvskip 0, 0                                            // 000000004DC0: BF108080
	s_setvskip s20, 3                                          // 000000004DC4: BF108314
	global_atomic_pk_add_bf16 v86, v71, s[8:9] offset:256      // 000000004DC8: DD488100 00084756
	s_setvskip 0, 0                                            // 000000004DD0: BF108080
	s_add_u32 s8, s59, s8                                      // 000000004DD4: 8008083B
	s_addc_u32 s9, 0, s9                                       // 000000004DD8: 82090980
	s_addk_i32 s80, 0x100                                      // 000000004DDC: B7500100
	s_cmp_lt_i32 s80, s81                                      // 000000004DE0: BF045150
	s_cbranch_scc0 label_0B25                                  // 000000004DE4: BF84032B
	s_waitcnt vmcnt(13) lgkmcnt(0)                             // 000000004DE8: BF8C007D
	s_barrier                                                  // 000000004DEC: BF8A0000
	v_mfma_f32_16x16x128_f8f6f4 v[128:131], a[32:39], v[96:103], 0// 000000004DF0: D3AD0080 0A02C120
	ds_read_b32 v64, v5 offset:34560                           // 000000004DF8: D86C8700 40000005
	ds_read_b32 v65, v5 offset:38912                           // 000000004E00: D86C9800 41000005
	ds_read_b32 v66, v5 offset:34568                           // 000000004E08: D86C8708 42000005
	ds_read_b32 v67, v5 offset:38920                           // 000000004E10: D86C9808 43000005
	ds_read_b32 v68, v5 offset:34592                           // 000000004E18: D86C8720 44000005
	ds_read_b32 v69, v5 offset:38944                           // 000000004E20: D86C9820 45000005
	ds_read_b32 v70, v5 offset:34600                           // 000000004E28: D86C8728 46000005
	ds_read_b32 v71, v5 offset:38952                           // 000000004E30: D86C9828 47000005
	v_mfma_f32_16x16x128_f8f6f4 v[132:135], a[40:47], v[96:103], 0// 000000004E38: D3AD0084 0A02C128
	buffer_load_dword v21, v6, s[16:19], 0 offen               // 000000004E40: E0501000 80041506
	buffer_load_dwordx4 a[0:3], v38, s[12:15], 0 offen         // 000000004E48: E05C1000 80830026
	buffer_load_dwordx4 a[4:7], v38, s[12:15], 0 offen offset:1024// 000000004E50: E05C1400 80830426
	buffer_load_dwordx4 a[8:11], v39, s[12:15], 0 offen        // 000000004E58: E05C1000 80830827
	buffer_load_dwordx4 a[12:15], v39, s[12:15], 0 offen offset:1024// 000000004E60: E05C1400 80830C27
	s_waitcnt vmcnt(13)                                        // 000000004E68: BF8C0F7D
	v_mfma_f32_16x16x128_f8f6f4 v[136:139], a[48:55], v[96:103], 0// 000000004E6C: D3AD0088 0A02C130
	ds_write_b64 v4, v[112:113] offset:17152                   // 000000004E74: D89A4300 00007004
	ds_write_b64 v4, v[114:115] offset:19328                   // 000000004E7C: D89A4B80 00007204
	ds_write_b64 v4, v[116:117] offset:21504                   // 000000004E84: D89A5400 00007404
	ds_write_b64 v4, v[118:119] offset:23680                   // 000000004E8C: D89A5C80 00007604
	v_mfma_f32_16x16x128_f8f6f4 v[140:143], a[56:63], v[96:103], 0// 000000004E94: D3AD008C 0A02C138
	buffer_load_dwordx4 a[16:19], v40, s[12:15], 0 offen       // 000000004E9C: E05C1000 80831028
	buffer_load_dwordx4 a[20:23], v40, s[12:15], 0 offen offset:1024// 000000004EA4: E05C1400 80831428
	buffer_load_dwordx4 a[24:27], v41, s[12:15], 0 offen       // 000000004EAC: E05C1000 80831829
	buffer_load_dwordx4 a[28:31], v41, s[12:15], 0 offen offset:1024// 000000004EB4: E05C1400 80831C29
	v_mul_f32_dpp v46, v22, v32 row_newbcast:0 row_mask:0xf bank_mask:0xf// 000000004EBC: 0A5C40FA FF015016
	v_mov_b32_e32 v47, v46                                     // 000000004EC4: 7E5E032E
	v_pk_mul_f32 v[128:129], v[46:47], v[128:129]              // 000000004EC8: D3B14080 1803012E
	v_pk_mul_f32 v[130:131], v[46:47], v[130:131]              // 000000004ED0: D3B14082 1803052E
	v_pk_mul_f32 v[132:133], v[46:47], v[132:133]              // 000000004ED8: D3B14084 1803092E
	v_pk_mul_f32 v[134:135], v[46:47], v[134:135]              // 000000004EE0: D3B14086 18030D2E
	v_mul_f32_dpp v46, v22, v32 row_newbcast:1 row_mask:0xf bank_mask:0xf// 000000004EE8: 0A5C40FA FF015116
	v_mov_b32_e32 v47, v46                                     // 000000004EF0: 7E5E032E
	v_pk_mul_f32 v[136:137], v[46:47], v[136:137]              // 000000004EF4: D3B14088 1803112E
	v_pk_mul_f32 v[138:139], v[46:47], v[138:139]              // 000000004EFC: D3B1408A 1803152E
	v_pk_mul_f32 v[140:141], v[46:47], v[140:141]              // 000000004F04: D3B1408C 1803192E
	v_pk_mul_f32 v[142:143], v[46:47], v[142:143]              // 000000004F0C: D3B1408E 18031D2E
	s_add_u32 s60, 0x300, s80                                  // 000000004F14: 803C50FF 00000300
	s_cmp_lt_u32 s60, s81                                      // 000000004F1C: BF0A513C
	s_cselect_b32 s56, s56, 0                                  // 000000004F20: 85388038
	s_cselect_b32 s78, s78, 0                                  // 000000004F24: 854E804E
	s_cselect_b32 s79, s79, 0                                  // 000000004F28: 854F804F
	s_add_u32 s12, s56, s12                                    // 000000004F2C: 800C0C38
	s_addc_u32 s13, 0, s13                                     // 000000004F30: 820D0D80
	s_add_u32 s16, s79, s16                                    // 000000004F34: 8010104F
	s_addc_u32 s17, 0, s17                                     // 000000004F38: 82111180
	v_mov_b32_e32 v46, v27                                     // 000000004F3C: 7E5C031B
	v_mov_b32_e32 v47, v27                                     // 000000004F40: 7E5E031B
	v_pk_mul_f32 v[128:129], v[46:47], v[128:129]              // 000000004F44: D3B14080 1803012E
	v_pk_mul_f32 v[130:131], v[46:47], v[130:131]              // 000000004F4C: D3B14082 1803052E
	v_pk_mul_f32 v[132:133], v[46:47], v[132:133]              // 000000004F54: D3B14084 1803092E
	v_pk_mul_f32 v[134:135], v[46:47], v[134:135]              // 000000004F5C: D3B14086 18030D2E
	v_pk_mul_f32 v[136:137], v[46:47], v[136:137]              // 000000004F64: D3B14088 1803112E
	v_pk_mul_f32 v[138:139], v[46:47], v[138:139]              // 000000004F6C: D3B1408A 1803152E
	v_pk_mul_f32 v[140:141], v[46:47], v[140:141]              // 000000004F74: D3B1408C 1803192E
	v_pk_mul_f32 v[142:143], v[46:47], v[142:143]              // 000000004F7C: D3B1408E 18031D2E
	v_cvt_pk_bf16_f32 v128, v128, v129                         // 000000004F84: D2680080 00030380
	v_cvt_pk_bf16_f32 v129, v130, v131                         // 000000004F8C: D2680081 00030782
	v_cvt_pk_bf16_f32 v130, v132, v133                         // 000000004F94: D2680082 00030B84
	v_cvt_pk_bf16_f32 v131, v134, v135                         // 000000004F9C: D2680083 00030F86
	v_cvt_pk_bf16_f32 v132, v136, v137                         // 000000004FA4: D2680084 00031388
	v_cvt_pk_bf16_f32 v133, v138, v139                         // 000000004FAC: D2680085 0003178A
	v_cvt_pk_bf16_f32 v134, v140, v141                         // 000000004FB4: D2680086 00031B8C
	v_cvt_pk_bf16_f32 v135, v142, v143                         // 000000004FBC: D2680087 00031F8E
	s_cmp_ge_u32 s80, 0x200                                    // 000000004FC4: BF09FF50 00000200
	s_cselect_b32 s59, 0x200, s59                              // 000000004FCC: 853B3BFF 00000200
	s_waitcnt lgkmcnt(0)                                       // 000000004FD4: BF8CC07F
	s_barrier                                                  // 000000004FD8: BF8A0000
	s_setvskip s20, 0                                          // 000000004FDC: BF108014
	global_atomic_pk_add_bf16 v80, v64, s[8:9]                 // 000000004FE0: DD488000 00084050
	s_setvskip 0, 0                                            // 000000004FE8: BF108080
	s_setvskip s20, 0                                          // 000000004FEC: BF108014
	global_atomic_pk_add_bf16 v80, v65, s[8:9] offset:256      // 000000004FF0: DD488100 00084150
	s_setvskip 0, 0                                            // 000000004FF8: BF108080
	s_setvskip s20, 1                                          // 000000004FFC: BF108114
	global_atomic_pk_add_bf16 v82, v66, s[8:9]                 // 000000005000: DD488000 00084252
	s_setvskip 0, 0                                            // 000000005008: BF108080
	s_setvskip s20, 1                                          // 00000000500C: BF108114
	global_atomic_pk_add_bf16 v82, v67, s[8:9] offset:256      // 000000005010: DD488100 00084352
	s_setvskip 0, 0                                            // 000000005018: BF108080
	s_setvskip s20, 2                                          // 00000000501C: BF108214
	global_atomic_pk_add_bf16 v84, v68, s[8:9]                 // 000000005020: DD488000 00084454
	s_setvskip 0, 0                                            // 000000005028: BF108080
	s_setvskip s20, 2                                          // 00000000502C: BF108214
	global_atomic_pk_add_bf16 v84, v69, s[8:9] offset:256      // 000000005030: DD488100 00084554
	s_setvskip 0, 0                                            // 000000005038: BF108080
	s_setvskip s20, 3                                          // 00000000503C: BF108314
	global_atomic_pk_add_bf16 v86, v70, s[8:9]                 // 000000005040: DD488000 00084656
	s_setvskip 0, 0                                            // 000000005048: BF108080
	s_setvskip s20, 3                                          // 00000000504C: BF108314
	global_atomic_pk_add_bf16 v86, v71, s[8:9] offset:256      // 000000005050: DD488100 00084756
	s_setvskip 0, 0                                            // 000000005058: BF108080
	s_add_u32 s8, s59, s8                                      // 00000000505C: 8008083B
	s_addc_u32 s9, 0, s9                                       // 000000005060: 82090980
	s_addk_i32 s80, 0x100                                      // 000000005064: B7500100
	s_cmp_lt_i32 s80, s81                                      // 000000005068: BF045150
	s_cbranch_scc0 label_0B25                                  // 00000000506C: BF840289
	s_waitcnt vmcnt(13) lgkmcnt(0)                             // 000000005070: BF8C007D
	s_barrier                                                  // 000000005074: BF8A0000
	v_mfma_f32_16x16x128_f8f6f4 v[112:115], a[64:71], v[96:103], 0// 000000005078: D3AD0070 0A02C140
	ds_read_b32 v64, v5 offset:17152                           // 000000005080: D86C4300 40000005
	ds_read_b32 v65, v5 offset:21504                           // 000000005088: D86C5400 41000005
	ds_read_b32 v66, v5 offset:17160                           // 000000005090: D86C4308 42000005
	ds_read_b32 v67, v5 offset:21512                           // 000000005098: D86C5408 43000005
	ds_read_b32 v68, v5 offset:17184                           // 0000000050A0: D86C4320 44000005
	ds_read_b32 v69, v5 offset:21536                           // 0000000050A8: D86C5420 45000005
	ds_read_b32 v70, v5 offset:17192                           // 0000000050B0: D86C4328 46000005
	ds_read_b32 v71, v5 offset:21544                           // 0000000050B8: D86C5428 47000005
	v_mfma_f32_16x16x128_f8f6f4 v[116:119], a[72:79], v[96:103], 0// 0000000050C0: D3AD0074 0A02C148
	buffer_load_dword v22, v6, s[16:19], 0 offen               // 0000000050C8: E0501000 80041606
	buffer_load_dwordx4 a[32:35], v38, s[12:15], 0 offen       // 0000000050D0: E05C1000 80832026
	buffer_load_dwordx4 a[36:39], v38, s[12:15], 0 offen offset:1024// 0000000050D8: E05C1400 80832426
	buffer_load_dwordx4 a[40:43], v39, s[12:15], 0 offen       // 0000000050E0: E05C1000 80832827
	buffer_load_dwordx4 a[44:47], v39, s[12:15], 0 offen offset:1024// 0000000050E8: E05C1400 80832C27
	s_waitcnt vmcnt(13)                                        // 0000000050F0: BF8C0F7D
	v_mfma_f32_16x16x128_f8f6f4 v[120:123], a[80:87], v[96:103], 0// 0000000050F4: D3AD0078 0A02C150
	ds_write_b64 v4, v[128:129] offset:34560                   // 0000000050FC: D89A8700 00008004
	ds_write_b64 v4, v[130:131] offset:36736                   // 000000005104: D89A8F80 00008204
	ds_write_b64 v4, v[132:133] offset:38912                   // 00000000510C: D89A9800 00008404
	ds_write_b64 v4, v[134:135] offset:41088                   // 000000005114: D89AA080 00008604
	v_mfma_f32_16x16x128_f8f6f4 v[124:127], a[88:95], v[96:103], 0// 00000000511C: D3AD007C 0A02C158
	buffer_load_dwordx4 a[48:51], v40, s[12:15], 0 offen       // 000000005124: E05C1000 80833028
	buffer_load_dwordx4 a[52:55], v40, s[12:15], 0 offen offset:1024// 00000000512C: E05C1400 80833428
	buffer_load_dwordx4 a[56:59], v41, s[12:15], 0 offen       // 000000005134: E05C1000 80833829
	buffer_load_dwordx4 a[60:63], v41, s[12:15], 0 offen offset:1024// 00000000513C: E05C1400 80833C29
	v_mul_f32_dpp v46, v23, v32 row_newbcast:0 row_mask:0xf bank_mask:0xf// 000000005144: 0A5C40FA FF015017
	v_mov_b32_e32 v47, v46                                     // 00000000514C: 7E5E032E
	v_pk_mul_f32 v[112:113], v[46:47], v[112:113]              // 000000005150: D3B14070 1802E12E
	v_pk_mul_f32 v[114:115], v[46:47], v[114:115]              // 000000005158: D3B14072 1802E52E
	v_pk_mul_f32 v[116:117], v[46:47], v[116:117]              // 000000005160: D3B14074 1802E92E
	v_pk_mul_f32 v[118:119], v[46:47], v[118:119]              // 000000005168: D3B14076 1802ED2E
	v_mul_f32_dpp v46, v23, v32 row_newbcast:1 row_mask:0xf bank_mask:0xf// 000000005170: 0A5C40FA FF015117
	v_mov_b32_e32 v47, v46                                     // 000000005178: 7E5E032E
	v_pk_mul_f32 v[120:121], v[46:47], v[120:121]              // 00000000517C: D3B14078 1802F12E
	v_pk_mul_f32 v[122:123], v[46:47], v[122:123]              // 000000005184: D3B1407A 1802F52E
	v_pk_mul_f32 v[124:125], v[46:47], v[124:125]              // 00000000518C: D3B1407C 1802F92E
	v_pk_mul_f32 v[126:127], v[46:47], v[126:127]              // 000000005194: D3B1407E 1802FD2E
	s_add_u32 s60, 0x300, s80                                  // 00000000519C: 803C50FF 00000300
	s_cmp_lt_u32 s60, s81                                      // 0000000051A4: BF0A513C
	s_cselect_b32 s56, s56, 0                                  // 0000000051A8: 85388038
	s_cselect_b32 s78, s78, 0                                  // 0000000051AC: 854E804E
	s_cselect_b32 s79, s79, 0                                  // 0000000051B0: 854F804F
	s_add_u32 s12, s56, s12                                    // 0000000051B4: 800C0C38
	s_addc_u32 s13, 0, s13                                     // 0000000051B8: 820D0D80
	s_add_u32 s16, s79, s16                                    // 0000000051BC: 8010104F
	s_addc_u32 s17, 0, s17                                     // 0000000051C0: 82111180
	v_mov_b32_e32 v46, v27                                     // 0000000051C4: 7E5C031B
	v_mov_b32_e32 v47, v27                                     // 0000000051C8: 7E5E031B
	v_pk_mul_f32 v[112:113], v[46:47], v[112:113]              // 0000000051CC: D3B14070 1802E12E
	v_pk_mul_f32 v[114:115], v[46:47], v[114:115]              // 0000000051D4: D3B14072 1802E52E
	v_pk_mul_f32 v[116:117], v[46:47], v[116:117]              // 0000000051DC: D3B14074 1802E92E
	v_pk_mul_f32 v[118:119], v[46:47], v[118:119]              // 0000000051E4: D3B14076 1802ED2E
	v_pk_mul_f32 v[120:121], v[46:47], v[120:121]              // 0000000051EC: D3B14078 1802F12E
	v_pk_mul_f32 v[122:123], v[46:47], v[122:123]              // 0000000051F4: D3B1407A 1802F52E
	v_pk_mul_f32 v[124:125], v[46:47], v[124:125]              // 0000000051FC: D3B1407C 1802F92E
	v_pk_mul_f32 v[126:127], v[46:47], v[126:127]              // 000000005204: D3B1407E 1802FD2E
	v_cvt_pk_bf16_f32 v112, v112, v113                         // 00000000520C: D2680070 0002E370
	v_cvt_pk_bf16_f32 v113, v114, v115                         // 000000005214: D2680071 0002E772
	v_cvt_pk_bf16_f32 v114, v116, v117                         // 00000000521C: D2680072 0002EB74
	v_cvt_pk_bf16_f32 v115, v118, v119                         // 000000005224: D2680073 0002EF76
	v_cvt_pk_bf16_f32 v116, v120, v121                         // 00000000522C: D2680074 0002F378
	v_cvt_pk_bf16_f32 v117, v122, v123                         // 000000005234: D2680075 0002F77A
	v_cvt_pk_bf16_f32 v118, v124, v125                         // 00000000523C: D2680076 0002FB7C
	v_cvt_pk_bf16_f32 v119, v126, v127                         // 000000005244: D2680077 0002FF7E
	s_cmp_ge_u32 s80, 0x200                                    // 00000000524C: BF09FF50 00000200
	s_cselect_b32 s59, 0x200, s59                              // 000000005254: 853B3BFF 00000200
	s_waitcnt lgkmcnt(0)                                       // 00000000525C: BF8CC07F
	s_barrier                                                  // 000000005260: BF8A0000
	s_setvskip s20, 0                                          // 000000005264: BF108014
	global_atomic_pk_add_bf16 v80, v64, s[8:9]                 // 000000005268: DD488000 00084050
	s_setvskip 0, 0                                            // 000000005270: BF108080
	s_setvskip s20, 0                                          // 000000005274: BF108014
	global_atomic_pk_add_bf16 v80, v65, s[8:9] offset:256      // 000000005278: DD488100 00084150
	s_setvskip 0, 0                                            // 000000005280: BF108080
	s_setvskip s20, 1                                          // 000000005284: BF108114
	global_atomic_pk_add_bf16 v82, v66, s[8:9]                 // 000000005288: DD488000 00084252
	s_setvskip 0, 0                                            // 000000005290: BF108080
	s_setvskip s20, 1                                          // 000000005294: BF108114
	global_atomic_pk_add_bf16 v82, v67, s[8:9] offset:256      // 000000005298: DD488100 00084352
	s_setvskip 0, 0                                            // 0000000052A0: BF108080
	s_setvskip s20, 2                                          // 0000000052A4: BF108214
	global_atomic_pk_add_bf16 v84, v68, s[8:9]                 // 0000000052A8: DD488000 00084454
	s_setvskip 0, 0                                            // 0000000052B0: BF108080
	s_setvskip s20, 2                                          // 0000000052B4: BF108214
	global_atomic_pk_add_bf16 v84, v69, s[8:9] offset:256      // 0000000052B8: DD488100 00084554
	s_setvskip 0, 0                                            // 0000000052C0: BF108080
	s_setvskip s20, 3                                          // 0000000052C4: BF108314
	global_atomic_pk_add_bf16 v86, v70, s[8:9]                 // 0000000052C8: DD488000 00084656
	s_setvskip 0, 0                                            // 0000000052D0: BF108080
	s_setvskip s20, 3                                          // 0000000052D4: BF108314
	global_atomic_pk_add_bf16 v86, v71, s[8:9] offset:256      // 0000000052D8: DD488100 00084756
	s_setvskip 0, 0                                            // 0000000052E0: BF108080
	s_add_u32 s8, s59, s8                                      // 0000000052E4: 8008083B
	s_addc_u32 s9, 0, s9                                       // 0000000052E8: 82090980
	s_addk_i32 s80, 0x100                                      // 0000000052EC: B7500100
	s_cmp_lt_i32 s80, s81                                      // 0000000052F0: BF045150
	s_cbranch_scc0 label_0B25                                  // 0000000052F4: BF8401E7
	s_waitcnt vmcnt(13) lgkmcnt(0)                             // 0000000052F8: BF8C007D
	s_barrier                                                  // 0000000052FC: BF8A0000
	v_mfma_f32_16x16x128_f8f6f4 v[128:131], a[0:7], v[96:103], 0// 000000005300: D3AD0080 0A02C100
	ds_read_b32 v64, v5 offset:34560                           // 000000005308: D86C8700 40000005
	ds_read_b32 v65, v5 offset:38912                           // 000000005310: D86C9800 41000005
	ds_read_b32 v66, v5 offset:34568                           // 000000005318: D86C8708 42000005
	ds_read_b32 v67, v5 offset:38920                           // 000000005320: D86C9808 43000005
	ds_read_b32 v68, v5 offset:34592                           // 000000005328: D86C8720 44000005
	ds_read_b32 v69, v5 offset:38944                           // 000000005330: D86C9820 45000005
	ds_read_b32 v70, v5 offset:34600                           // 000000005338: D86C8728 46000005
	ds_read_b32 v71, v5 offset:38952                           // 000000005340: D86C9828 47000005
	v_mfma_f32_16x16x128_f8f6f4 v[132:135], a[8:15], v[96:103], 0// 000000005348: D3AD0084 0A02C108
	buffer_load_dword v23, v6, s[16:19], 0 offen               // 000000005350: E0501000 80041706
	buffer_load_dwordx4 a[64:67], v38, s[12:15], 0 offen       // 000000005358: E05C1000 80834026
	buffer_load_dwordx4 a[68:71], v38, s[12:15], 0 offen offset:1024// 000000005360: E05C1400 80834426
	buffer_load_dwordx4 a[72:75], v39, s[12:15], 0 offen       // 000000005368: E05C1000 80834827
	buffer_load_dwordx4 a[76:79], v39, s[12:15], 0 offen offset:1024// 000000005370: E05C1400 80834C27
	s_waitcnt vmcnt(13)                                        // 000000005378: BF8C0F7D
	v_mfma_f32_16x16x128_f8f6f4 v[136:139], a[16:23], v[96:103], 0// 00000000537C: D3AD0088 0A02C110
	ds_write_b64 v4, v[112:113] offset:17152                   // 000000005384: D89A4300 00007004
	ds_write_b64 v4, v[114:115] offset:19328                   // 00000000538C: D89A4B80 00007204
	ds_write_b64 v4, v[116:117] offset:21504                   // 000000005394: D89A5400 00007404
	ds_write_b64 v4, v[118:119] offset:23680                   // 00000000539C: D89A5C80 00007604
	v_mfma_f32_16x16x128_f8f6f4 v[140:143], a[24:31], v[96:103], 0// 0000000053A4: D3AD008C 0A02C118
	buffer_load_dwordx4 a[80:83], v40, s[12:15], 0 offen       // 0000000053AC: E05C1000 80835028
	buffer_load_dwordx4 a[84:87], v40, s[12:15], 0 offen offset:1024// 0000000053B4: E05C1400 80835428
	buffer_load_dwordx4 a[88:91], v41, s[12:15], 0 offen       // 0000000053BC: E05C1000 80835829
	buffer_load_dwordx4 a[92:95], v41, s[12:15], 0 offen offset:1024// 0000000053C4: E05C1400 80835C29
	v_mul_f32_dpp v46, v21, v32 row_newbcast:0 row_mask:0xf bank_mask:0xf// 0000000053CC: 0A5C40FA FF015015
	v_mov_b32_e32 v47, v46                                     // 0000000053D4: 7E5E032E
	v_pk_mul_f32 v[128:129], v[46:47], v[128:129]              // 0000000053D8: D3B14080 1803012E
	v_pk_mul_f32 v[130:131], v[46:47], v[130:131]              // 0000000053E0: D3B14082 1803052E
	v_pk_mul_f32 v[132:133], v[46:47], v[132:133]              // 0000000053E8: D3B14084 1803092E
	v_pk_mul_f32 v[134:135], v[46:47], v[134:135]              // 0000000053F0: D3B14086 18030D2E
	v_mul_f32_dpp v46, v21, v32 row_newbcast:1 row_mask:0xf bank_mask:0xf// 0000000053F8: 0A5C40FA FF015115
	v_mov_b32_e32 v47, v46                                     // 000000005400: 7E5E032E
	v_pk_mul_f32 v[136:137], v[46:47], v[136:137]              // 000000005404: D3B14088 1803112E
	v_pk_mul_f32 v[138:139], v[46:47], v[138:139]              // 00000000540C: D3B1408A 1803152E
	v_pk_mul_f32 v[140:141], v[46:47], v[140:141]              // 000000005414: D3B1408C 1803192E
	v_pk_mul_f32 v[142:143], v[46:47], v[142:143]              // 00000000541C: D3B1408E 18031D2E
	s_add_u32 s60, 0x300, s80                                  // 000000005424: 803C50FF 00000300
	s_cmp_lt_u32 s60, s81                                      // 00000000542C: BF0A513C
	s_cselect_b32 s56, s56, 0                                  // 000000005430: 85388038
	s_cselect_b32 s78, s78, 0                                  // 000000005434: 854E804E
	s_cselect_b32 s79, s79, 0                                  // 000000005438: 854F804F
	s_add_u32 s12, s56, s12                                    // 00000000543C: 800C0C38
	s_addc_u32 s13, 0, s13                                     // 000000005440: 820D0D80
	s_add_u32 s16, s79, s16                                    // 000000005444: 8010104F
	s_addc_u32 s17, 0, s17                                     // 000000005448: 82111180
	v_mov_b32_e32 v46, v27                                     // 00000000544C: 7E5C031B
	v_mov_b32_e32 v47, v27                                     // 000000005450: 7E5E031B
	v_pk_mul_f32 v[128:129], v[46:47], v[128:129]              // 000000005454: D3B14080 1803012E
	v_pk_mul_f32 v[130:131], v[46:47], v[130:131]              // 00000000545C: D3B14082 1803052E
	v_pk_mul_f32 v[132:133], v[46:47], v[132:133]              // 000000005464: D3B14084 1803092E
	v_pk_mul_f32 v[134:135], v[46:47], v[134:135]              // 00000000546C: D3B14086 18030D2E
	v_pk_mul_f32 v[136:137], v[46:47], v[136:137]              // 000000005474: D3B14088 1803112E
	v_pk_mul_f32 v[138:139], v[46:47], v[138:139]              // 00000000547C: D3B1408A 1803152E
	v_pk_mul_f32 v[140:141], v[46:47], v[140:141]              // 000000005484: D3B1408C 1803192E
	v_pk_mul_f32 v[142:143], v[46:47], v[142:143]              // 00000000548C: D3B1408E 18031D2E
	v_cvt_pk_bf16_f32 v128, v128, v129                         // 000000005494: D2680080 00030380
	v_cvt_pk_bf16_f32 v129, v130, v131                         // 00000000549C: D2680081 00030782
	v_cvt_pk_bf16_f32 v130, v132, v133                         // 0000000054A4: D2680082 00030B84
	v_cvt_pk_bf16_f32 v131, v134, v135                         // 0000000054AC: D2680083 00030F86
	v_cvt_pk_bf16_f32 v132, v136, v137                         // 0000000054B4: D2680084 00031388
	v_cvt_pk_bf16_f32 v133, v138, v139                         // 0000000054BC: D2680085 0003178A
	v_cvt_pk_bf16_f32 v134, v140, v141                         // 0000000054C4: D2680086 00031B8C
	v_cvt_pk_bf16_f32 v135, v142, v143                         // 0000000054CC: D2680087 00031F8E
	s_cmp_ge_u32 s80, 0x200                                    // 0000000054D4: BF09FF50 00000200
	s_cselect_b32 s59, 0x200, s59                              // 0000000054DC: 853B3BFF 00000200
	s_waitcnt lgkmcnt(0)                                       // 0000000054E4: BF8CC07F
	s_barrier                                                  // 0000000054E8: BF8A0000
	s_setvskip s20, 0                                          // 0000000054EC: BF108014
	global_atomic_pk_add_bf16 v80, v64, s[8:9]                 // 0000000054F0: DD488000 00084050
	s_setvskip 0, 0                                            // 0000000054F8: BF108080
	s_setvskip s20, 0                                          // 0000000054FC: BF108014
	global_atomic_pk_add_bf16 v80, v65, s[8:9] offset:256      // 000000005500: DD488100 00084150
	s_setvskip 0, 0                                            // 000000005508: BF108080
	s_setvskip s20, 1                                          // 00000000550C: BF108114
	global_atomic_pk_add_bf16 v82, v66, s[8:9]                 // 000000005510: DD488000 00084252
	s_setvskip 0, 0                                            // 000000005518: BF108080
	s_setvskip s20, 1                                          // 00000000551C: BF108114
	global_atomic_pk_add_bf16 v82, v67, s[8:9] offset:256      // 000000005520: DD488100 00084352
	s_setvskip 0, 0                                            // 000000005528: BF108080
	s_setvskip s20, 2                                          // 00000000552C: BF108214
	global_atomic_pk_add_bf16 v84, v68, s[8:9]                 // 000000005530: DD488000 00084454
	s_setvskip 0, 0                                            // 000000005538: BF108080
	s_setvskip s20, 2                                          // 00000000553C: BF108214
	global_atomic_pk_add_bf16 v84, v69, s[8:9] offset:256      // 000000005540: DD488100 00084554
	s_setvskip 0, 0                                            // 000000005548: BF108080
	s_setvskip s20, 3                                          // 00000000554C: BF108314
	global_atomic_pk_add_bf16 v86, v70, s[8:9]                 // 000000005550: DD488000 00084656
	s_setvskip 0, 0                                            // 000000005558: BF108080
	s_setvskip s20, 3                                          // 00000000555C: BF108314
	global_atomic_pk_add_bf16 v86, v71, s[8:9] offset:256      // 000000005560: DD488100 00084756
	s_setvskip 0, 0                                            // 000000005568: BF108080
	s_add_u32 s8, s59, s8                                      // 00000000556C: 8008083B
	s_addc_u32 s9, 0, s9                                       // 000000005570: 82090980
	s_addk_i32 s80, 0x100                                      // 000000005574: B7500100
	s_cmp_lt_i32 s80, s81                                      // 000000005578: BF045150
	s_cbranch_scc0 label_0B25                                  // 00000000557C: BF840145
	s_waitcnt vmcnt(13) lgkmcnt(0)                             // 000000005580: BF8C007D
	s_barrier                                                  // 000000005584: BF8A0000
	v_mfma_f32_16x16x128_f8f6f4 v[112:115], a[32:39], v[96:103], 0// 000000005588: D3AD0070 0A02C120
	ds_read_b32 v64, v5 offset:17152                           // 000000005590: D86C4300 40000005
	ds_read_b32 v65, v5 offset:21504                           // 000000005598: D86C5400 41000005
	ds_read_b32 v66, v5 offset:17160                           // 0000000055A0: D86C4308 42000005
	ds_read_b32 v67, v5 offset:21512                           // 0000000055A8: D86C5408 43000005
	ds_read_b32 v68, v5 offset:17184                           // 0000000055B0: D86C4320 44000005
	ds_read_b32 v69, v5 offset:21536                           // 0000000055B8: D86C5420 45000005
	ds_read_b32 v70, v5 offset:17192                           // 0000000055C0: D86C4328 46000005
	ds_read_b32 v71, v5 offset:21544                           // 0000000055C8: D86C5428 47000005
	v_mfma_f32_16x16x128_f8f6f4 v[116:119], a[40:47], v[96:103], 0// 0000000055D0: D3AD0074 0A02C128
	buffer_load_dword v21, v6, s[16:19], 0 offen               // 0000000055D8: E0501000 80041506
	buffer_load_dwordx4 a[0:3], v38, s[12:15], 0 offen         // 0000000055E0: E05C1000 80830026
	buffer_load_dwordx4 a[4:7], v38, s[12:15], 0 offen offset:1024// 0000000055E8: E05C1400 80830426
	buffer_load_dwordx4 a[8:11], v39, s[12:15], 0 offen        // 0000000055F0: E05C1000 80830827
	buffer_load_dwordx4 a[12:15], v39, s[12:15], 0 offen offset:1024// 0000000055F8: E05C1400 80830C27
	s_waitcnt vmcnt(13)                                        // 000000005600: BF8C0F7D
	v_mfma_f32_16x16x128_f8f6f4 v[120:123], a[48:55], v[96:103], 0// 000000005604: D3AD0078 0A02C130
	ds_write_b64 v4, v[128:129] offset:34560                   // 00000000560C: D89A8700 00008004
	ds_write_b64 v4, v[130:131] offset:36736                   // 000000005614: D89A8F80 00008204
	ds_write_b64 v4, v[132:133] offset:38912                   // 00000000561C: D89A9800 00008404
	ds_write_b64 v4, v[134:135] offset:41088                   // 000000005624: D89AA080 00008604
	v_mfma_f32_16x16x128_f8f6f4 v[124:127], a[56:63], v[96:103], 0// 00000000562C: D3AD007C 0A02C138
	buffer_load_dwordx4 a[16:19], v40, s[12:15], 0 offen       // 000000005634: E05C1000 80831028
	buffer_load_dwordx4 a[20:23], v40, s[12:15], 0 offen offset:1024// 00000000563C: E05C1400 80831428
	buffer_load_dwordx4 a[24:27], v41, s[12:15], 0 offen       // 000000005644: E05C1000 80831829
	buffer_load_dwordx4 a[28:31], v41, s[12:15], 0 offen offset:1024// 00000000564C: E05C1400 80831C29
	v_mul_f32_dpp v46, v22, v32 row_newbcast:0 row_mask:0xf bank_mask:0xf// 000000005654: 0A5C40FA FF015016
	v_mov_b32_e32 v47, v46                                     // 00000000565C: 7E5E032E
	v_pk_mul_f32 v[112:113], v[46:47], v[112:113]              // 000000005660: D3B14070 1802E12E
	v_pk_mul_f32 v[114:115], v[46:47], v[114:115]              // 000000005668: D3B14072 1802E52E
	v_pk_mul_f32 v[116:117], v[46:47], v[116:117]              // 000000005670: D3B14074 1802E92E
	v_pk_mul_f32 v[118:119], v[46:47], v[118:119]              // 000000005678: D3B14076 1802ED2E
	v_mul_f32_dpp v46, v22, v32 row_newbcast:1 row_mask:0xf bank_mask:0xf// 000000005680: 0A5C40FA FF015116
	v_mov_b32_e32 v47, v46                                     // 000000005688: 7E5E032E
	v_pk_mul_f32 v[120:121], v[46:47], v[120:121]              // 00000000568C: D3B14078 1802F12E
	v_pk_mul_f32 v[122:123], v[46:47], v[122:123]              // 000000005694: D3B1407A 1802F52E
	v_pk_mul_f32 v[124:125], v[46:47], v[124:125]              // 00000000569C: D3B1407C 1802F92E
	v_pk_mul_f32 v[126:127], v[46:47], v[126:127]              // 0000000056A4: D3B1407E 1802FD2E
	s_add_u32 s60, 0x300, s80                                  // 0000000056AC: 803C50FF 00000300
	s_cmp_lt_u32 s60, s81                                      // 0000000056B4: BF0A513C
	s_cselect_b32 s56, s56, 0                                  // 0000000056B8: 85388038
	s_cselect_b32 s78, s78, 0                                  // 0000000056BC: 854E804E
	s_cselect_b32 s79, s79, 0                                  // 0000000056C0: 854F804F
	s_add_u32 s12, s56, s12                                    // 0000000056C4: 800C0C38
	s_addc_u32 s13, 0, s13                                     // 0000000056C8: 820D0D80
	s_add_u32 s16, s79, s16                                    // 0000000056CC: 8010104F
	s_addc_u32 s17, 0, s17                                     // 0000000056D0: 82111180
	v_mov_b32_e32 v46, v27                                     // 0000000056D4: 7E5C031B
	v_mov_b32_e32 v47, v27                                     // 0000000056D8: 7E5E031B
	v_pk_mul_f32 v[112:113], v[46:47], v[112:113]              // 0000000056DC: D3B14070 1802E12E
	v_pk_mul_f32 v[114:115], v[46:47], v[114:115]              // 0000000056E4: D3B14072 1802E52E
	v_pk_mul_f32 v[116:117], v[46:47], v[116:117]              // 0000000056EC: D3B14074 1802E92E
	v_pk_mul_f32 v[118:119], v[46:47], v[118:119]              // 0000000056F4: D3B14076 1802ED2E
	v_pk_mul_f32 v[120:121], v[46:47], v[120:121]              // 0000000056FC: D3B14078 1802F12E
	v_pk_mul_f32 v[122:123], v[46:47], v[122:123]              // 000000005704: D3B1407A 1802F52E
	v_pk_mul_f32 v[124:125], v[46:47], v[124:125]              // 00000000570C: D3B1407C 1802F92E
	v_pk_mul_f32 v[126:127], v[46:47], v[126:127]              // 000000005714: D3B1407E 1802FD2E
	v_cvt_pk_bf16_f32 v112, v112, v113                         // 00000000571C: D2680070 0002E370
	v_cvt_pk_bf16_f32 v113, v114, v115                         // 000000005724: D2680071 0002E772
	v_cvt_pk_bf16_f32 v114, v116, v117                         // 00000000572C: D2680072 0002EB74
	v_cvt_pk_bf16_f32 v115, v118, v119                         // 000000005734: D2680073 0002EF76
	v_cvt_pk_bf16_f32 v116, v120, v121                         // 00000000573C: D2680074 0002F378
	v_cvt_pk_bf16_f32 v117, v122, v123                         // 000000005744: D2680075 0002F77A
	v_cvt_pk_bf16_f32 v118, v124, v125                         // 00000000574C: D2680076 0002FB7C
	v_cvt_pk_bf16_f32 v119, v126, v127                         // 000000005754: D2680077 0002FF7E
	s_cmp_ge_u32 s80, 0x200                                    // 00000000575C: BF09FF50 00000200
	s_cselect_b32 s59, 0x200, s59                              // 000000005764: 853B3BFF 00000200
	s_waitcnt lgkmcnt(0)                                       // 00000000576C: BF8CC07F
	s_barrier                                                  // 000000005770: BF8A0000
	s_setvskip s20, 0                                          // 000000005774: BF108014
	global_atomic_pk_add_bf16 v80, v64, s[8:9]                 // 000000005778: DD488000 00084050
	s_setvskip 0, 0                                            // 000000005780: BF108080
	s_setvskip s20, 0                                          // 000000005784: BF108014
	global_atomic_pk_add_bf16 v80, v65, s[8:9] offset:256      // 000000005788: DD488100 00084150
	s_setvskip 0, 0                                            // 000000005790: BF108080
	s_setvskip s20, 1                                          // 000000005794: BF108114
	global_atomic_pk_add_bf16 v82, v66, s[8:9]                 // 000000005798: DD488000 00084252
	s_setvskip 0, 0                                            // 0000000057A0: BF108080
	s_setvskip s20, 1                                          // 0000000057A4: BF108114
	global_atomic_pk_add_bf16 v82, v67, s[8:9] offset:256      // 0000000057A8: DD488100 00084352
	s_setvskip 0, 0                                            // 0000000057B0: BF108080
	s_setvskip s20, 2                                          // 0000000057B4: BF108214
	global_atomic_pk_add_bf16 v84, v68, s[8:9]                 // 0000000057B8: DD488000 00084454
	s_setvskip 0, 0                                            // 0000000057C0: BF108080
	s_setvskip s20, 2                                          // 0000000057C4: BF108214
	global_atomic_pk_add_bf16 v84, v69, s[8:9] offset:256      // 0000000057C8: DD488100 00084554
	s_setvskip 0, 0                                            // 0000000057D0: BF108080
	s_setvskip s20, 3                                          // 0000000057D4: BF108314
	global_atomic_pk_add_bf16 v86, v70, s[8:9]                 // 0000000057D8: DD488000 00084656
	s_setvskip 0, 0                                            // 0000000057E0: BF108080
	s_setvskip s20, 3                                          // 0000000057E4: BF108314
	global_atomic_pk_add_bf16 v86, v71, s[8:9] offset:256      // 0000000057E8: DD488100 00084756
	s_setvskip 0, 0                                            // 0000000057F0: BF108080
	s_add_u32 s8, s59, s8                                      // 0000000057F4: 8008083B
	s_addc_u32 s9, 0, s9                                       // 0000000057F8: 82090980
	s_addk_i32 s80, 0x100                                      // 0000000057FC: B7500100
	s_cmp_lt_i32 s80, s81                                      // 000000005800: BF045150
	s_cbranch_scc0 label_0B25                                  // 000000005804: BF8400A3
	s_waitcnt vmcnt(13) lgkmcnt(0)                             // 000000005808: BF8C007D
	s_barrier                                                  // 00000000580C: BF8A0000
	v_mfma_f32_16x16x128_f8f6f4 v[128:131], a[64:71], v[96:103], 0// 000000005810: D3AD0080 0A02C140
	ds_read_b32 v64, v5 offset:34560                           // 000000005818: D86C8700 40000005
	ds_read_b32 v65, v5 offset:38912                           // 000000005820: D86C9800 41000005
	ds_read_b32 v66, v5 offset:34568                           // 000000005828: D86C8708 42000005
	ds_read_b32 v67, v5 offset:38920                           // 000000005830: D86C9808 43000005
	ds_read_b32 v68, v5 offset:34592                           // 000000005838: D86C8720 44000005
	ds_read_b32 v69, v5 offset:38944                           // 000000005840: D86C9820 45000005
	ds_read_b32 v70, v5 offset:34600                           // 000000005848: D86C8728 46000005
	ds_read_b32 v71, v5 offset:38952                           // 000000005850: D86C9828 47000005
	v_mfma_f32_16x16x128_f8f6f4 v[132:135], a[72:79], v[96:103], 0// 000000005858: D3AD0084 0A02C148
	buffer_load_dword v22, v6, s[16:19], 0 offen               // 000000005860: E0501000 80041606
	buffer_load_dwordx4 a[32:35], v38, s[12:15], 0 offen       // 000000005868: E05C1000 80832026
	buffer_load_dwordx4 a[36:39], v38, s[12:15], 0 offen offset:1024// 000000005870: E05C1400 80832426
	buffer_load_dwordx4 a[40:43], v39, s[12:15], 0 offen       // 000000005878: E05C1000 80832827
	buffer_load_dwordx4 a[44:47], v39, s[12:15], 0 offen offset:1024// 000000005880: E05C1400 80832C27
	s_waitcnt vmcnt(13)                                        // 000000005888: BF8C0F7D
	v_mfma_f32_16x16x128_f8f6f4 v[136:139], a[80:87], v[96:103], 0// 00000000588C: D3AD0088 0A02C150
	ds_write_b64 v4, v[112:113] offset:17152                   // 000000005894: D89A4300 00007004
	ds_write_b64 v4, v[114:115] offset:19328                   // 00000000589C: D89A4B80 00007204
	ds_write_b64 v4, v[116:117] offset:21504                   // 0000000058A4: D89A5400 00007404
	ds_write_b64 v4, v[118:119] offset:23680                   // 0000000058AC: D89A5C80 00007604
	v_mfma_f32_16x16x128_f8f6f4 v[140:143], a[88:95], v[96:103], 0// 0000000058B4: D3AD008C 0A02C158
	buffer_load_dwordx4 a[48:51], v40, s[12:15], 0 offen       // 0000000058BC: E05C1000 80833028
	buffer_load_dwordx4 a[52:55], v40, s[12:15], 0 offen offset:1024// 0000000058C4: E05C1400 80833428
	buffer_load_dwordx4 a[56:59], v41, s[12:15], 0 offen       // 0000000058CC: E05C1000 80833829
	buffer_load_dwordx4 a[60:63], v41, s[12:15], 0 offen offset:1024// 0000000058D4: E05C1400 80833C29
	v_mul_f32_dpp v46, v23, v32 row_newbcast:0 row_mask:0xf bank_mask:0xf// 0000000058DC: 0A5C40FA FF015017
	v_mov_b32_e32 v47, v46                                     // 0000000058E4: 7E5E032E
	v_pk_mul_f32 v[128:129], v[46:47], v[128:129]              // 0000000058E8: D3B14080 1803012E
	v_pk_mul_f32 v[130:131], v[46:47], v[130:131]              // 0000000058F0: D3B14082 1803052E
	v_pk_mul_f32 v[132:133], v[46:47], v[132:133]              // 0000000058F8: D3B14084 1803092E
	v_pk_mul_f32 v[134:135], v[46:47], v[134:135]              // 000000005900: D3B14086 18030D2E
	v_mul_f32_dpp v46, v23, v32 row_newbcast:1 row_mask:0xf bank_mask:0xf// 000000005908: 0A5C40FA FF015117
	v_mov_b32_e32 v47, v46                                     // 000000005910: 7E5E032E
	v_pk_mul_f32 v[136:137], v[46:47], v[136:137]              // 000000005914: D3B14088 1803112E
	v_pk_mul_f32 v[138:139], v[46:47], v[138:139]              // 00000000591C: D3B1408A 1803152E
	v_pk_mul_f32 v[140:141], v[46:47], v[140:141]              // 000000005924: D3B1408C 1803192E
	v_pk_mul_f32 v[142:143], v[46:47], v[142:143]              // 00000000592C: D3B1408E 18031D2E
	s_add_u32 s60, 0x300, s80                                  // 000000005934: 803C50FF 00000300
	s_cmp_lt_u32 s60, s81                                      // 00000000593C: BF0A513C
	s_cselect_b32 s56, s56, 0                                  // 000000005940: 85388038
	s_cselect_b32 s78, s78, 0                                  // 000000005944: 854E804E
	s_cselect_b32 s79, s79, 0                                  // 000000005948: 854F804F
	s_add_u32 s12, s56, s12                                    // 00000000594C: 800C0C38
	s_addc_u32 s13, 0, s13                                     // 000000005950: 820D0D80
	s_add_u32 s16, s79, s16                                    // 000000005954: 8010104F
	s_addc_u32 s17, 0, s17                                     // 000000005958: 82111180
	v_mov_b32_e32 v46, v27                                     // 00000000595C: 7E5C031B
	v_mov_b32_e32 v47, v27                                     // 000000005960: 7E5E031B
	v_pk_mul_f32 v[128:129], v[46:47], v[128:129]              // 000000005964: D3B14080 1803012E
	v_pk_mul_f32 v[130:131], v[46:47], v[130:131]              // 00000000596C: D3B14082 1803052E
	v_pk_mul_f32 v[132:133], v[46:47], v[132:133]              // 000000005974: D3B14084 1803092E
	v_pk_mul_f32 v[134:135], v[46:47], v[134:135]              // 00000000597C: D3B14086 18030D2E
	v_pk_mul_f32 v[136:137], v[46:47], v[136:137]              // 000000005984: D3B14088 1803112E
	v_pk_mul_f32 v[138:139], v[46:47], v[138:139]              // 00000000598C: D3B1408A 1803152E
	v_pk_mul_f32 v[140:141], v[46:47], v[140:141]              // 000000005994: D3B1408C 1803192E
	v_pk_mul_f32 v[142:143], v[46:47], v[142:143]              // 00000000599C: D3B1408E 18031D2E
	v_cvt_pk_bf16_f32 v128, v128, v129                         // 0000000059A4: D2680080 00030380
	v_cvt_pk_bf16_f32 v129, v130, v131                         // 0000000059AC: D2680081 00030782
	v_cvt_pk_bf16_f32 v130, v132, v133                         // 0000000059B4: D2680082 00030B84
	v_cvt_pk_bf16_f32 v131, v134, v135                         // 0000000059BC: D2680083 00030F86
	v_cvt_pk_bf16_f32 v132, v136, v137                         // 0000000059C4: D2680084 00031388
	v_cvt_pk_bf16_f32 v133, v138, v139                         // 0000000059CC: D2680085 0003178A
	v_cvt_pk_bf16_f32 v134, v140, v141                         // 0000000059D4: D2680086 00031B8C
	v_cvt_pk_bf16_f32 v135, v142, v143                         // 0000000059DC: D2680087 00031F8E
	s_cmp_ge_u32 s80, 0x200                                    // 0000000059E4: BF09FF50 00000200
	s_cselect_b32 s59, 0x200, s59                              // 0000000059EC: 853B3BFF 00000200
	s_waitcnt lgkmcnt(0)                                       // 0000000059F4: BF8CC07F
	s_barrier                                                  // 0000000059F8: BF8A0000
	s_setvskip s20, 0                                          // 0000000059FC: BF108014
	global_atomic_pk_add_bf16 v80, v64, s[8:9]                 // 000000005A00: DD488000 00084050
	s_setvskip 0, 0                                            // 000000005A08: BF108080
	s_setvskip s20, 0                                          // 000000005A0C: BF108014
	global_atomic_pk_add_bf16 v80, v65, s[8:9] offset:256      // 000000005A10: DD488100 00084150
	s_setvskip 0, 0                                            // 000000005A18: BF108080
	s_setvskip s20, 1                                          // 000000005A1C: BF108114
	global_atomic_pk_add_bf16 v82, v66, s[8:9]                 // 000000005A20: DD488000 00084252
	s_setvskip 0, 0                                            // 000000005A28: BF108080
	s_setvskip s20, 1                                          // 000000005A2C: BF108114
	global_atomic_pk_add_bf16 v82, v67, s[8:9] offset:256      // 000000005A30: DD488100 00084352
	s_setvskip 0, 0                                            // 000000005A38: BF108080
	s_setvskip s20, 2                                          // 000000005A3C: BF108214
	global_atomic_pk_add_bf16 v84, v68, s[8:9]                 // 000000005A40: DD488000 00084454
	s_setvskip 0, 0                                            // 000000005A48: BF108080
	s_setvskip s20, 2                                          // 000000005A4C: BF108214
	global_atomic_pk_add_bf16 v84, v69, s[8:9] offset:256      // 000000005A50: DD488100 00084554
	s_setvskip 0, 0                                            // 000000005A58: BF108080
	s_setvskip s20, 3                                          // 000000005A5C: BF108314
	global_atomic_pk_add_bf16 v86, v70, s[8:9]                 // 000000005A60: DD488000 00084656
	s_setvskip 0, 0                                            // 000000005A68: BF108080
	s_setvskip s20, 3                                          // 000000005A6C: BF108314
	global_atomic_pk_add_bf16 v86, v71, s[8:9] offset:256      // 000000005A70: DD488100 00084756
	s_setvskip 0, 0                                            // 000000005A78: BF108080
	s_add_u32 s8, s59, s8                                      // 000000005A7C: 8008083B
	s_addc_u32 s9, 0, s9                                       // 000000005A80: 82090980
	s_addk_i32 s80, 0x100                                      // 000000005A84: B7500100
	s_cmp_lt_i32 s80, s81                                      // 000000005A88: BF045150
	s_cbranch_scc0 label_0B25                                  // 000000005A8C: BF840001
	s_branch label_0758                                        // 000000005A90: BF82FC33

0000000000005a94 <label_0B25>:
	s_nop 0                                                    // 000000005A94: BF800000
	s_nop 0                                                    // 000000005A98: BF800000
	s_branch label_1364                                        // 000000005A9C: BF82083C

0000000000005aa0 <label_0B28>:
	s_waitcnt vmcnt(35) lgkmcnt(0)                             // 000000005AA0: BF8C8073
	s_barrier                                                  // 000000005AA4: BF8A0000
	v_mfma_f32_16x16x128_f8f6f4 v[104:107], a[0:7], v[112:119], 0// 000000005AA8: D3AD0068 0A02E100
	buffer_load_dwordx4 v[144:147], v34, s[20:23], 0 offen     // 000000005AB0: E05C1000 80059022
	buffer_load_dwordx4 v[148:151], v34, s[20:23], 0 offen offset:16// 000000005AB8: E05C1010 80059422
	buffer_load_dword v23, v11, s[32:35], 0 offen              // 000000005AC0: E0501000 8008170B
	buffer_load_dword v26, v13, s[32:35], 0 offen              // 000000005AC8: E0501000 80081A0D
	buffer_load_dwordx4 a[128:131], v36, s[24:27], 0 offen     // 000000005AD0: E05C1000 80868024
	buffer_load_dwordx4 a[132:135], v36, s[24:27], 0 offen offset:1024// 000000005AD8: E05C1400 80868424
	buffer_load_dwordx4 a[136:139], v37, s[24:27], 0 offen     // 000000005AE0: E05C1000 80868825
	buffer_load_dwordx4 a[140:143], v37, s[24:27], 0 offen offset:1024// 000000005AE8: E05C1400 80868C25
	s_waitcnt vmcnt(35)                                        // 000000005AF0: BF8C8F73
	v_mfma_f32_16x16x128_f8f6f4 v[108:111], a[8:15], v[112:119], 0// 000000005AF4: D3AD006C 0A02E108
	v_mul_f32_dpp v46, v21, v15 row_newbcast:0 row_mask:0xf bank_mask:0xf// 000000005AFC: 0A5C1EFA FF015015
	v_mov_b32_e32 v47, v46                                     // 000000005B04: 7E5E032E
	v_pk_fma_f32 v[96:97], v[104:105], v[46:47], v[96:97]      // 000000005B08: D3B04060 1D825D68
	v_pk_fma_f32 v[98:99], v[106:107], v[46:47], v[98:99]      // 000000005B10: D3B04062 1D8A5D6A
	v_pk_fma_f32 v[100:101], v[108:109], v[46:47], v[100:101]  // 000000005B18: D3B04064 1D925D6C
	v_pk_fma_f32 v[102:103], v[110:111], v[46:47], v[102:103]  // 000000005B20: D3B04066 1D9A5D6E
	s_waitcnt vmcnt(33)                                        // 000000005B28: BF8C8F71
	v_mfma_f32_16x16x128_f8f6f4 v[104:107], a[16:23], v[120:127], 0// 000000005B2C: D3AD0068 0A02F110
	buffer_load_dwordx4 a[144:147], v36, s[24:27], 0 offen offset:2048// 000000005B34: E05C1800 80869024
	buffer_load_dwordx4 a[148:151], v36, s[24:27], 0 offen offset:3072// 000000005B3C: E05C1C00 80869424
	buffer_load_dwordx4 a[152:155], v37, s[24:27], 0 offen offset:2048// 000000005B44: E05C1800 80869825
	buffer_load_dwordx4 a[156:159], v37, s[24:27], 0 offen offset:3072// 000000005B4C: E05C1C00 80869C25
	s_waitcnt vmcnt(35)                                        // 000000005B54: BF8C8F73
	v_mfma_f32_16x16x128_f8f6f4 v[108:111], a[24:31], v[120:127], 0// 000000005B58: D3AD006C 0A02F118
	v_mul_f32_dpp v46, v21, v16 row_newbcast:2 row_mask:0xf bank_mask:0xf// 000000005B60: 0A5C20FA FF015215
	v_mov_b32_e32 v47, v46                                     // 000000005B68: 7E5E032E
	v_pk_fma_f32 v[96:97], v[104:105], v[46:47], v[96:97]      // 000000005B6C: D3B04060 1D825D68
	v_pk_fma_f32 v[98:99], v[106:107], v[46:47], v[98:99]      // 000000005B74: D3B04062 1D8A5D6A
	v_pk_fma_f32 v[100:101], v[108:109], v[46:47], v[100:101]  // 000000005B7C: D3B04064 1D925D6C
	v_pk_fma_f32 v[102:103], v[110:111], v[46:47], v[102:103]  // 000000005B84: D3B04066 1D9A5D6E
	s_add_u32 s60, 0x300, s80                                  // 000000005B8C: 803C50FF 00000300
	s_cmp_lt_u32 s60, s81                                      // 000000005B94: BF0A513C
	s_cselect_b32 s4, s4, 0                                    // 000000005B98: 85048004
	s_add_u32 s32, s4, s32                                     // 000000005B9C: 80202004
	s_addc_u32 s33, 0, s33                                     // 000000005BA0: 82212180
	s_waitcnt vmcnt(21)                                        // 000000005BA4: BF8C4F75
	s_barrier                                                  // 000000005BA8: BF8A0000
	v_mfma_f32_16x16x128_f8f6f4 v[104:107], a[32:39], v[112:119], 0// 000000005BAC: D3AD0068 0A02E120
	buffer_load_dwordx4 a[160:163], v36, s[92:95], 0 offen     // 000000005BB4: E05C1000 8097A024
	buffer_load_dwordx4 a[164:167], v36, s[92:95], 0 offen offset:1024// 000000005BBC: E05C1400 8097A424
	buffer_load_dwordx4 a[168:171], v37, s[92:95], 0 offen     // 000000005BC4: E05C1000 8097A825
	buffer_load_dwordx4 a[172:175], v37, s[92:95], 0 offen offset:1024// 000000005BCC: E05C1400 8097AC25
	s_waitcnt vmcnt(25)                                        // 000000005BD4: BF8C4F79
	v_mfma_f32_16x16x128_f8f6f4 v[108:111], a[40:47], v[112:119], 0// 000000005BD8: D3AD006C 0A02E128
	s_waitcnt vmcnt(22)                                        // 000000005BE0: BF8C4F76
	v_mov_b32_e32 v30, 0                                       // 000000005BE4: 7E3C0280
	v_lshlrev_b32_e32 v46, 16, v128                            // 000000005BE8: 245D0090
	v_and_b32_e32 v47, 0xffff0000, v128                        // 000000005BEC: 265F00FF FFFF0000
	v_max3_f32 v30, |v47|, |v46|, v30                          // 000000005BF4: D1D3031E 047A5D2F
	v_lshlrev_b32_e32 v46, 16, v129                            // 000000005BFC: 245D0290
	v_and_b32_e32 v47, 0xffff0000, v129                        // 000000005C00: 265F02FF FFFF0000
	v_max3_f32 v30, |v47|, |v46|, v30                          // 000000005C08: D1D3031E 047A5D2F
	v_lshlrev_b32_e32 v46, 16, v130                            // 000000005C10: 245D0490
	v_and_b32_e32 v47, 0xffff0000, v130                        // 000000005C14: 265F04FF FFFF0000
	v_max3_f32 v30, |v47|, |v46|, v30                          // 000000005C1C: D1D3031E 047A5D2F
	v_lshlrev_b32_e32 v46, 16, v131                            // 000000005C24: 245D0690
	v_and_b32_e32 v47, 0xffff0000, v131                        // 000000005C28: 265F06FF FFFF0000
	v_max3_f32 v30, |v47|, |v46|, v30                          // 000000005C30: D1D3031E 047A5D2F
	v_lshlrev_b32_e32 v46, 16, v132                            // 000000005C38: 245D0890
	v_and_b32_e32 v47, 0xffff0000, v132                        // 000000005C3C: 265F08FF FFFF0000
	v_max3_f32 v30, |v47|, |v46|, v30                          // 000000005C44: D1D3031E 047A5D2F
	v_lshlrev_b32_e32 v46, 16, v133                            // 000000005C4C: 245D0A90
	v_and_b32_e32 v47, 0xffff0000, v133                        // 000000005C50: 265F0AFF FFFF0000
	v_max3_f32 v30, |v47|, |v46|, v30                          // 000000005C58: D1D3031E 047A5D2F
	v_lshlrev_b32_e32 v46, 16, v134                            // 000000005C60: 245D0C90
	v_and_b32_e32 v47, 0xffff0000, v134                        // 000000005C64: 265F0CFF FFFF0000
	v_max3_f32 v30, |v47|, |v46|, v30                          // 000000005C6C: D1D3031E 047A5D2F
	v_lshlrev_b32_e32 v46, 16, v135                            // 000000005C74: 245D0E90
	v_and_b32_e32 v47, 0xffff0000, v135                        // 000000005C78: 265F0EFF FFFF0000
	v_max3_f32 v30, |v47|, |v46|, v30                          // 000000005C80: D1D3031E 047A5D2F
	s_barrier                                                  // 000000005C88: BF8A0000
	v_max_f32_dpp v31, v30, v30 quad_perm:[1,2,3,0] row_mask:0xf bank_mask:0xf// 000000005C8C: 163E3CFA FF00391E
	s_nop 1                                                    // 000000005C94: BF800001
	v_max_f32_dpp v46, v31, v31 quad_perm:[2,3,0,1] row_mask:0xf bank_mask:0xf// 000000005C98: 165C3EFA FF004E1F
	s_nop 1                                                    // 000000005CA0: BF800001
	v_max_f32_dpp v30, v46, v46 row_half_mirror row_mask:0xf bank_mask:0xf// 000000005CA4: 163C5CFA FF01412E
	v_rcp_f32_e32 v46, v30                                     // 000000005CAC: 7E5C451E
	v_mov_b32_e32 v47, 0x43e00000                              // 000000005CB0: 7E5E02FF 43E00000
	v_mul_f32_e32 v31, v47, v46                                // 000000005CB8: 0A3E5D2F
	v_mov_b32_e32 v30, v31                                     // 000000005CBC: 7E3C031F
	v_lshlrev_b32_e32 v46, 16, v128                            // 000000005CC0: 245D0090
	v_and_b32_e32 v47, 0xffff0000, v128                        // 000000005CC4: 265F00FF FFFF0000
	v_pk_mul_f32 v[46:47], v[46:47], v[30:31]                  // 000000005CCC: D3B1402E 18023D2E
	v_cvt_pk_fp8_f32 v128, v46, v47                            // 000000005CD4: D2A20080 00025F2E
	v_lshlrev_b32_e32 v46, 16, v129                            // 000000005CDC: 245D0290
	v_and_b32_e32 v47, 0xffff0000, v129                        // 000000005CE0: 265F02FF FFFF0000
	v_pk_mul_f32 v[46:47], v[46:47], v[30:31]                  // 000000005CE8: D3B1402E 18023D2E
	v_cvt_pk_fp8_f32 v128, v46, v47 op_sel:[0,0,1]             // 000000005CF0: D2A24080 00025F2E
	v_lshlrev_b32_e32 v46, 16, v130                            // 000000005CF8: 245D0490
	v_and_b32_e32 v47, 0xffff0000, v130                        // 000000005CFC: 265F04FF FFFF0000
	v_pk_mul_f32 v[46:47], v[46:47], v[30:31]                  // 000000005D04: D3B1402E 18023D2E
	v_cvt_pk_fp8_f32 v129, v46, v47                            // 000000005D0C: D2A20081 00025F2E
	v_lshlrev_b32_e32 v46, 16, v131                            // 000000005D14: 245D0690
	v_and_b32_e32 v47, 0xffff0000, v131                        // 000000005D18: 265F06FF FFFF0000
	v_pk_mul_f32 v[46:47], v[46:47], v[30:31]                  // 000000005D20: D3B1402E 18023D2E
	v_cvt_pk_fp8_f32 v129, v46, v47 op_sel:[0,0,1]             // 000000005D28: D2A24081 00025F2E
	v_lshlrev_b32_e32 v46, 16, v132                            // 000000005D30: 245D0890
	v_and_b32_e32 v47, 0xffff0000, v132                        // 000000005D34: 265F08FF FFFF0000
	v_pk_mul_f32 v[46:47], v[46:47], v[30:31]                  // 000000005D3C: D3B1402E 18023D2E
	v_cvt_pk_fp8_f32 v130, v46, v47                            // 000000005D44: D2A20082 00025F2E
	v_lshlrev_b32_e32 v46, 16, v133                            // 000000005D4C: 245D0A90
	v_and_b32_e32 v47, 0xffff0000, v133                        // 000000005D50: 265F0AFF FFFF0000
	v_pk_mul_f32 v[46:47], v[46:47], v[30:31]                  // 000000005D58: D3B1402E 18023D2E
	v_cvt_pk_fp8_f32 v130, v46, v47 op_sel:[0,0,1]             // 000000005D60: D2A24082 00025F2E
	v_lshlrev_b32_e32 v46, 16, v134                            // 000000005D68: 245D0C90
	v_and_b32_e32 v47, 0xffff0000, v134                        // 000000005D6C: 265F0CFF FFFF0000
	v_pk_mul_f32 v[46:47], v[46:47], v[30:31]                  // 000000005D74: D3B1402E 18023D2E
	v_cvt_pk_fp8_f32 v131, v46, v47                            // 000000005D7C: D2A20083 00025F2E
	v_lshlrev_b32_e32 v46, 16, v135                            // 000000005D84: 245D0E90
	v_and_b32_e32 v47, 0xffff0000, v135                        // 000000005D88: 265F0EFF FFFF0000
	v_pk_mul_f32 v[46:47], v[46:47], v[30:31]                  // 000000005D90: D3B1402E 18023D2E
	v_cvt_pk_fp8_f32 v131, v46, v47 op_sel:[0,0,1]             // 000000005D98: D2A24083 00025F2E
	v_lshlrev_b32_e32 v46, 4, v0                               // 000000005DA0: 245C0084
	v_add_u32_e64 v46, v46, s51                                // 000000005DA4: D134002E 0000672E
	ds_write_b128 v46, v[128:131]                              // 000000005DAC: D9BE0000 0000802E
	v_rcp_f32_e32 v32, v31                                     // 000000005DB4: 7E40451F
	v_add_u32_e32 v46, 0, v33                                  // 000000005DB8: 685C4280
	s_mov_b64 s[60:61], exec                                   // 000000005DBC: BEBC017E
	s_mov_b32 s62, 0xf0f0f0f                                   // 000000005DC0: BEBE00FF 0F0F0F0F
	s_mov_b32 s63, 0xf0f0f0f                                   // 000000005DC8: BEBF00FF 0F0F0F0F
	s_mov_b64 exec, s[62:63]                                   // 000000005DD0: BEFE013E
	ds_write_b32 v46, v32 offset:9728                          // 000000005DD4: D81A2600 0000202E
	s_mov_b64 exec, s[60:61]                                   // 000000005DDC: BEFE013C
	v_mul_f32_dpp v46, v24, v15 row_newbcast:0 row_mask:0xf bank_mask:0xf// 000000005DE0: 0A5C1EFA FF015018
	v_mov_b32_e32 v47, v46                                     // 000000005DE8: 7E5E032E
	v_pk_fma_f32 v[64:65], v[104:105], v[46:47], v[64:65]      // 000000005DEC: D3B04040 1D025D68
	v_pk_fma_f32 v[66:67], v[106:107], v[46:47], v[66:67]      // 000000005DF4: D3B04042 1D0A5D6A
	v_pk_fma_f32 v[68:69], v[108:109], v[46:47], v[68:69]      // 000000005DFC: D3B04044 1D125D6C
	v_pk_fma_f32 v[70:71], v[110:111], v[46:47], v[70:71]      // 000000005E04: D3B04046 1D1A5D6E
	s_waitcnt vmcnt(23)                                        // 000000005E0C: BF8C4F77
	v_mfma_f32_16x16x128_f8f6f4 v[104:107], a[48:55], v[120:127], 0// 000000005E10: D3AD0068 0A02F130
	buffer_load_dwordx4 a[176:179], v36, s[92:95], 0 offen offset:2048// 000000005E18: E05C1800 8097B024
	buffer_load_dwordx4 a[180:183], v36, s[92:95], 0 offen offset:3072// 000000005E20: E05C1C00 8097B424
	buffer_load_dwordx4 a[184:187], v37, s[92:95], 0 offen offset:2048// 000000005E28: E05C1800 8097B825
	buffer_load_dwordx4 a[188:191], v37, s[92:95], 0 offen offset:3072// 000000005E30: E05C1C00 8097BC25
	s_waitcnt vmcnt(25)                                        // 000000005E38: BF8C4F79
	v_mfma_f32_16x16x128_f8f6f4 v[108:111], a[56:63], v[120:127], 0// 000000005E3C: D3AD006C 0A02F138
	s_waitcnt lgkmcnt(0)                                       // 000000005E44: BF8CC07F
	s_barrier                                                  // 000000005E48: BF8A0000
	ds_read_b128 v[128:131], v2 offset:5376                    // 000000005E4C: D9FE1500 80000002
	ds_read_b128 v[132:135], v2 offset:5440                    // 000000005E54: D9FE1540 84000002
	ds_read_b128 v[136:139], v2 offset:5888                    // 000000005E5C: D9FE1700 88000002
	ds_read_b128 v[140:143], v2 offset:5952                    // 000000005E64: D9FE1740 8C000002
	ds_read_b32 v17, v3 offset:9728                            // 000000005E6C: D86C2600 11000003
	ds_read_b32 v18, v3 offset:9984                            // 000000005E74: D86C2700 12000003
	v_mul_f32_dpp v46, v24, v16 row_newbcast:2 row_mask:0xf bank_mask:0xf// 000000005E7C: 0A5C20FA FF015218
	v_mov_b32_e32 v47, v46                                     // 000000005E84: 7E5E032E
	v_pk_fma_f32 v[64:65], v[104:105], v[46:47], v[64:65]      // 000000005E88: D3B04040 1D025D68
	v_pk_fma_f32 v[66:67], v[106:107], v[46:47], v[66:67]      // 000000005E90: D3B04042 1D0A5D6A
	v_pk_fma_f32 v[68:69], v[108:109], v[46:47], v[68:69]      // 000000005E98: D3B04044 1D125D6C
	v_pk_fma_f32 v[70:71], v[110:111], v[46:47], v[70:71]      // 000000005EA0: D3B04046 1D1A5D6E
	s_add_u32 s60, 0x300, s80                                  // 000000005EA8: 803C50FF 00000300
	s_cmp_lt_u32 s60, s81                                      // 000000005EB0: BF0A513C
	s_cselect_b32 s57, s57, 0                                  // 000000005EB4: 85398039
	s_add_u32 s60, 0x300, s80                                  // 000000005EB8: 803C50FF 00000300
	s_cmp_lt_u32 s60, s81                                      // 000000005EC0: BF0A513C
	s_cselect_b32 s58, s58, 0                                  // 000000005EC4: 853A803A
	s_cselect_b32 s90, s90, 0                                  // 000000005EC8: 855A805A
	s_add_u32 s20, s57, s20                                    // 000000005ECC: 80141439
	s_addc_u32 s21, 0, s21                                     // 000000005ED0: 82151580
	s_add_u32 s24, s58, s24                                    // 000000005ED4: 8018183A
	s_addc_u32 s25, 0, s25                                     // 000000005ED8: 82191980
	s_add_u32 s92, s90, s92                                    // 000000005EDC: 805C5C5A
	s_addc_u32 s93, 0, s93                                     // 000000005EE0: 825D5D80
	s_addk_i32 s80, 0x100                                      // 000000005EE4: B7500100
	s_cmp_lt_i32 s80, s81                                      // 000000005EE8: BF045150
	s_cbranch_scc0 label_0E65                                  // 000000005EEC: BF840229
	s_waitcnt vmcnt(35) lgkmcnt(0)                             // 000000005EF0: BF8C8073
	s_barrier                                                  // 000000005EF4: BF8A0000
	v_mfma_f32_16x16x128_f8f6f4 v[104:107], a[64:71], v[128:135], 0// 000000005EF8: D3AD0068 0A030140
	buffer_load_dwordx4 v[112:115], v34, s[20:23], 0 offen     // 000000005F00: E05C1000 80057022
	buffer_load_dwordx4 v[116:119], v34, s[20:23], 0 offen offset:16// 000000005F08: E05C1010 80057422
	buffer_load_dword v21, v11, s[32:35], 0 offen              // 000000005F10: E0501000 8008150B
	buffer_load_dword v24, v13, s[32:35], 0 offen              // 000000005F18: E0501000 8008180D
	buffer_load_dwordx4 a[0:3], v36, s[24:27], 0 offen         // 000000005F20: E05C1000 80860024
	buffer_load_dwordx4 a[4:7], v36, s[24:27], 0 offen offset:1024// 000000005F28: E05C1400 80860424
	buffer_load_dwordx4 a[8:11], v37, s[24:27], 0 offen        // 000000005F30: E05C1000 80860825
	buffer_load_dwordx4 a[12:15], v37, s[24:27], 0 offen offset:1024// 000000005F38: E05C1400 80860C25
	s_waitcnt vmcnt(35)                                        // 000000005F40: BF8C8F73
	v_mfma_f32_16x16x128_f8f6f4 v[108:111], a[72:79], v[128:135], 0// 000000005F44: D3AD006C 0A030148
	v_mul_f32_dpp v46, v22, v17 row_newbcast:0 row_mask:0xf bank_mask:0xf// 000000005F4C: 0A5C22FA FF015016
	v_mov_b32_e32 v47, v46                                     // 000000005F54: 7E5E032E
	v_pk_fma_f32 v[96:97], v[104:105], v[46:47], v[96:97]      // 000000005F58: D3B04060 1D825D68
	v_pk_fma_f32 v[98:99], v[106:107], v[46:47], v[98:99]      // 000000005F60: D3B04062 1D8A5D6A
	v_pk_fma_f32 v[100:101], v[108:109], v[46:47], v[100:101]  // 000000005F68: D3B04064 1D925D6C
	v_pk_fma_f32 v[102:103], v[110:111], v[46:47], v[102:103]  // 000000005F70: D3B04066 1D9A5D6E
	s_waitcnt vmcnt(33)                                        // 000000005F78: BF8C8F71
	v_mfma_f32_16x16x128_f8f6f4 v[104:107], a[80:87], v[136:143], 0// 000000005F7C: D3AD0068 0A031150
	buffer_load_dwordx4 a[16:19], v36, s[24:27], 0 offen offset:2048// 000000005F84: E05C1800 80861024
	buffer_load_dwordx4 a[20:23], v36, s[24:27], 0 offen offset:3072// 000000005F8C: E05C1C00 80861424
	buffer_load_dwordx4 a[24:27], v37, s[24:27], 0 offen offset:2048// 000000005F94: E05C1800 80861825
	buffer_load_dwordx4 a[28:31], v37, s[24:27], 0 offen offset:3072// 000000005F9C: E05C1C00 80861C25
	s_waitcnt vmcnt(35)                                        // 000000005FA4: BF8C8F73
	v_mfma_f32_16x16x128_f8f6f4 v[108:111], a[88:95], v[136:143], 0// 000000005FA8: D3AD006C 0A031158
	v_mul_f32_dpp v46, v22, v18 row_newbcast:2 row_mask:0xf bank_mask:0xf// 000000005FB0: 0A5C24FA FF015216
	v_mov_b32_e32 v47, v46                                     // 000000005FB8: 7E5E032E
	v_pk_fma_f32 v[96:97], v[104:105], v[46:47], v[96:97]      // 000000005FBC: D3B04060 1D825D68
	v_pk_fma_f32 v[98:99], v[106:107], v[46:47], v[98:99]      // 000000005FC4: D3B04062 1D8A5D6A
	v_pk_fma_f32 v[100:101], v[108:109], v[46:47], v[100:101]  // 000000005FCC: D3B04064 1D925D6C
	v_pk_fma_f32 v[102:103], v[110:111], v[46:47], v[102:103]  // 000000005FD4: D3B04066 1D9A5D6E
	s_add_u32 s60, 0x300, s80                                  // 000000005FDC: 803C50FF 00000300
	s_cmp_lt_u32 s60, s81                                      // 000000005FE4: BF0A513C
	s_cselect_b32 s4, s4, 0                                    // 000000005FE8: 85048004
	s_add_u32 s32, s4, s32                                     // 000000005FEC: 80202004
	s_addc_u32 s33, 0, s33                                     // 000000005FF0: 82212180
	s_waitcnt vmcnt(21)                                        // 000000005FF4: BF8C4F75
	s_barrier                                                  // 000000005FF8: BF8A0000
	v_mfma_f32_16x16x128_f8f6f4 v[104:107], a[96:103], v[128:135], 0// 000000005FFC: D3AD0068 0A030160
	buffer_load_dwordx4 a[32:35], v36, s[92:95], 0 offen       // 000000006004: E05C1000 80972024
	buffer_load_dwordx4 a[36:39], v36, s[92:95], 0 offen offset:1024// 00000000600C: E05C1400 80972424
	buffer_load_dwordx4 a[40:43], v37, s[92:95], 0 offen       // 000000006014: E05C1000 80972825
	buffer_load_dwordx4 a[44:47], v37, s[92:95], 0 offen offset:1024// 00000000601C: E05C1400 80972C25
	s_waitcnt vmcnt(25)                                        // 000000006024: BF8C4F79
	v_mfma_f32_16x16x128_f8f6f4 v[108:111], a[104:111], v[128:135], 0// 000000006028: D3AD006C 0A030168
	s_waitcnt vmcnt(22)                                        // 000000006030: BF8C4F76
	v_mov_b32_e32 v30, 0                                       // 000000006034: 7E3C0280
	v_lshlrev_b32_e32 v46, 16, v144                            // 000000006038: 245D2090
	v_and_b32_e32 v47, 0xffff0000, v144                        // 00000000603C: 265F20FF FFFF0000
	v_max3_f32 v30, |v47|, |v46|, v30                          // 000000006044: D1D3031E 047A5D2F
	v_lshlrev_b32_e32 v46, 16, v145                            // 00000000604C: 245D2290
	v_and_b32_e32 v47, 0xffff0000, v145                        // 000000006050: 265F22FF FFFF0000
	v_max3_f32 v30, |v47|, |v46|, v30                          // 000000006058: D1D3031E 047A5D2F
	v_lshlrev_b32_e32 v46, 16, v146                            // 000000006060: 245D2490
	v_and_b32_e32 v47, 0xffff0000, v146                        // 000000006064: 265F24FF FFFF0000
	v_max3_f32 v30, |v47|, |v46|, v30                          // 00000000606C: D1D3031E 047A5D2F
	v_lshlrev_b32_e32 v46, 16, v147                            // 000000006074: 245D2690
	v_and_b32_e32 v47, 0xffff0000, v147                        // 000000006078: 265F26FF FFFF0000
	v_max3_f32 v30, |v47|, |v46|, v30                          // 000000006080: D1D3031E 047A5D2F
	v_lshlrev_b32_e32 v46, 16, v148                            // 000000006088: 245D2890
	v_and_b32_e32 v47, 0xffff0000, v148                        // 00000000608C: 265F28FF FFFF0000
	v_max3_f32 v30, |v47|, |v46|, v30                          // 000000006094: D1D3031E 047A5D2F
	v_lshlrev_b32_e32 v46, 16, v149                            // 00000000609C: 245D2A90
	v_and_b32_e32 v47, 0xffff0000, v149                        // 0000000060A0: 265F2AFF FFFF0000
	v_max3_f32 v30, |v47|, |v46|, v30                          // 0000000060A8: D1D3031E 047A5D2F
	v_lshlrev_b32_e32 v46, 16, v150                            // 0000000060B0: 245D2C90
	v_and_b32_e32 v47, 0xffff0000, v150                        // 0000000060B4: 265F2CFF FFFF0000
	v_max3_f32 v30, |v47|, |v46|, v30                          // 0000000060BC: D1D3031E 047A5D2F
	v_lshlrev_b32_e32 v46, 16, v151                            // 0000000060C4: 245D2E90
	v_and_b32_e32 v47, 0xffff0000, v151                        // 0000000060C8: 265F2EFF FFFF0000
	v_max3_f32 v30, |v47|, |v46|, v30                          // 0000000060D0: D1D3031E 047A5D2F
	s_barrier                                                  // 0000000060D8: BF8A0000
	v_max_f32_dpp v31, v30, v30 quad_perm:[1,2,3,0] row_mask:0xf bank_mask:0xf// 0000000060DC: 163E3CFA FF00391E
	s_nop 1                                                    // 0000000060E4: BF800001
	v_max_f32_dpp v46, v31, v31 quad_perm:[2,3,0,1] row_mask:0xf bank_mask:0xf// 0000000060E8: 165C3EFA FF004E1F
	s_nop 1                                                    // 0000000060F0: BF800001
	v_max_f32_dpp v30, v46, v46 row_half_mirror row_mask:0xf bank_mask:0xf// 0000000060F4: 163C5CFA FF01412E
	v_rcp_f32_e32 v46, v30                                     // 0000000060FC: 7E5C451E
	v_mov_b32_e32 v47, 0x43e00000                              // 000000006100: 7E5E02FF 43E00000
	v_mul_f32_e32 v31, v47, v46                                // 000000006108: 0A3E5D2F
	v_mov_b32_e32 v30, v31                                     // 00000000610C: 7E3C031F
	v_lshlrev_b32_e32 v46, 16, v144                            // 000000006110: 245D2090
	v_and_b32_e32 v47, 0xffff0000, v144                        // 000000006114: 265F20FF FFFF0000
	v_pk_mul_f32 v[46:47], v[46:47], v[30:31]                  // 00000000611C: D3B1402E 18023D2E
	v_cvt_pk_fp8_f32 v144, v46, v47                            // 000000006124: D2A20090 00025F2E
	v_lshlrev_b32_e32 v46, 16, v145                            // 00000000612C: 245D2290
	v_and_b32_e32 v47, 0xffff0000, v145                        // 000000006130: 265F22FF FFFF0000
	v_pk_mul_f32 v[46:47], v[46:47], v[30:31]                  // 000000006138: D3B1402E 18023D2E
	v_cvt_pk_fp8_f32 v144, v46, v47 op_sel:[0,0,1]             // 000000006140: D2A24090 00025F2E
	v_lshlrev_b32_e32 v46, 16, v146                            // 000000006148: 245D2490
	v_and_b32_e32 v47, 0xffff0000, v146                        // 00000000614C: 265F24FF FFFF0000
	v_pk_mul_f32 v[46:47], v[46:47], v[30:31]                  // 000000006154: D3B1402E 18023D2E
	v_cvt_pk_fp8_f32 v145, v46, v47                            // 00000000615C: D2A20091 00025F2E
	v_lshlrev_b32_e32 v46, 16, v147                            // 000000006164: 245D2690
	v_and_b32_e32 v47, 0xffff0000, v147                        // 000000006168: 265F26FF FFFF0000
	v_pk_mul_f32 v[46:47], v[46:47], v[30:31]                  // 000000006170: D3B1402E 18023D2E
	v_cvt_pk_fp8_f32 v145, v46, v47 op_sel:[0,0,1]             // 000000006178: D2A24091 00025F2E
	v_lshlrev_b32_e32 v46, 16, v148                            // 000000006180: 245D2890
	v_and_b32_e32 v47, 0xffff0000, v148                        // 000000006184: 265F28FF FFFF0000
	v_pk_mul_f32 v[46:47], v[46:47], v[30:31]                  // 00000000618C: D3B1402E 18023D2E
	v_cvt_pk_fp8_f32 v146, v46, v47                            // 000000006194: D2A20092 00025F2E
	v_lshlrev_b32_e32 v46, 16, v149                            // 00000000619C: 245D2A90
	v_and_b32_e32 v47, 0xffff0000, v149                        // 0000000061A0: 265F2AFF FFFF0000
	v_pk_mul_f32 v[46:47], v[46:47], v[30:31]                  // 0000000061A8: D3B1402E 18023D2E
	v_cvt_pk_fp8_f32 v146, v46, v47 op_sel:[0,0,1]             // 0000000061B0: D2A24092 00025F2E
	v_lshlrev_b32_e32 v46, 16, v150                            // 0000000061B8: 245D2C90
	v_and_b32_e32 v47, 0xffff0000, v150                        // 0000000061BC: 265F2CFF FFFF0000
	v_pk_mul_f32 v[46:47], v[46:47], v[30:31]                  // 0000000061C4: D3B1402E 18023D2E
	v_cvt_pk_fp8_f32 v147, v46, v47                            // 0000000061CC: D2A20093 00025F2E
	v_lshlrev_b32_e32 v46, 16, v151                            // 0000000061D4: 245D2E90
	v_and_b32_e32 v47, 0xffff0000, v151                        // 0000000061D8: 265F2EFF FFFF0000
	v_pk_mul_f32 v[46:47], v[46:47], v[30:31]                  // 0000000061E0: D3B1402E 18023D2E
	v_cvt_pk_fp8_f32 v147, v46, v47 op_sel:[0,0,1]             // 0000000061E8: D2A24093 00025F2E
	v_lshlrev_b32_e32 v46, 4, v0                               // 0000000061F0: 245C0084
	v_add_u32_e64 v46, v46, s52                                // 0000000061F4: D134002E 0000692E
	ds_write_b128 v46, v[144:147]                              // 0000000061FC: D9BE0000 0000902E
	v_rcp_f32_e32 v32, v31                                     // 000000006204: 7E40451F
	v_add_u32_e32 v46, 0, v33                                  // 000000006208: 685C4280
	s_mov_b64 s[60:61], exec                                   // 00000000620C: BEBC017E
	s_mov_b32 s62, 0xf0f0f0f                                   // 000000006210: BEBE00FF 0F0F0F0F
	s_mov_b32 s63, 0xf0f0f0f                                   // 000000006218: BEBF00FF 0F0F0F0F
	s_mov_b64 exec, s[62:63]                                   // 000000006220: BEFE013E
	ds_write_b32 v46, v32 offset:15104                         // 000000006224: D81A3B00 0000202E
	s_mov_b64 exec, s[60:61]                                   // 00000000622C: BEFE013C
	v_mul_f32_dpp v46, v25, v17 row_newbcast:0 row_mask:0xf bank_mask:0xf// 000000006230: 0A5C22FA FF015019
	v_mov_b32_e32 v47, v46                                     // 000000006238: 7E5E032E
	v_pk_fma_f32 v[64:65], v[104:105], v[46:47], v[64:65]      // 00000000623C: D3B04040 1D025D68
	v_pk_fma_f32 v[66:67], v[106:107], v[46:47], v[66:67]      // 000000006244: D3B04042 1D0A5D6A
	v_pk_fma_f32 v[68:69], v[108:109], v[46:47], v[68:69]      // 00000000624C: D3B04044 1D125D6C
	v_pk_fma_f32 v[70:71], v[110:111], v[46:47], v[70:71]      // 000000006254: D3B04046 1D1A5D6E
	s_waitcnt vmcnt(23)                                        // 00000000625C: BF8C4F77
	v_mfma_f32_16x16x128_f8f6f4 v[104:107], a[112:119], v[136:143], 0// 000000006260: D3AD0068 0A031170
	buffer_load_dwordx4 a[48:51], v36, s[92:95], 0 offen offset:2048// 000000006268: E05C1800 80973024
	buffer_load_dwordx4 a[52:55], v36, s[92:95], 0 offen offset:3072// 000000006270: E05C1C00 80973424
	buffer_load_dwordx4 a[56:59], v37, s[92:95], 0 offen offset:2048// 000000006278: E05C1800 80973825
	buffer_load_dwordx4 a[60:63], v37, s[92:95], 0 offen offset:3072// 000000006280: E05C1C00 80973C25
	s_waitcnt vmcnt(25)                                        // 000000006288: BF8C4F79
	v_mfma_f32_16x16x128_f8f6f4 v[108:111], a[120:127], v[136:143], 0// 00000000628C: D3AD006C 0A031178
	s_waitcnt lgkmcnt(0)                                       // 000000006294: BF8CC07F
	s_barrier                                                  // 000000006298: BF8A0000
	ds_read_b128 v[144:147], v2 offset:10752                   // 00000000629C: D9FE2A00 90000002
	ds_read_b128 v[148:151], v2 offset:10816                   // 0000000062A4: D9FE2A40 94000002
	ds_read_b128 v[152:155], v2 offset:11264                   // 0000000062AC: D9FE2C00 98000002
	ds_read_b128 v[156:159], v2 offset:11328                   // 0000000062B4: D9FE2C40 9C000002
	ds_read_b32 v19, v3 offset:15104                           // 0000000062BC: D86C3B00 13000003
	ds_read_b32 v20, v3 offset:15360                           // 0000000062C4: D86C3C00 14000003
	v_mul_f32_dpp v46, v25, v18 row_newbcast:2 row_mask:0xf bank_mask:0xf// 0000000062CC: 0A5C24FA FF015219
	v_mov_b32_e32 v47, v46                                     // 0000000062D4: 7E5E032E
	v_pk_fma_f32 v[64:65], v[104:105], v[46:47], v[64:65]      // 0000000062D8: D3B04040 1D025D68
	v_pk_fma_f32 v[66:67], v[106:107], v[46:47], v[66:67]      // 0000000062E0: D3B04042 1D0A5D6A
	v_pk_fma_f32 v[68:69], v[108:109], v[46:47], v[68:69]      // 0000000062E8: D3B04044 1D125D6C
	v_pk_fma_f32 v[70:71], v[110:111], v[46:47], v[70:71]      // 0000000062F0: D3B04046 1D1A5D6E
	s_add_u32 s60, 0x300, s80                                  // 0000000062F8: 803C50FF 00000300
	s_cmp_lt_u32 s60, s81                                      // 000000006300: BF0A513C
	s_cselect_b32 s57, s57, 0                                  // 000000006304: 85398039
	s_add_u32 s60, 0x300, s80                                  // 000000006308: 803C50FF 00000300
	s_cmp_lt_u32 s60, s81                                      // 000000006310: BF0A513C
	s_cselect_b32 s58, s58, 0                                  // 000000006314: 853A803A
	s_cselect_b32 s90, s90, 0                                  // 000000006318: 855A805A
	s_add_u32 s20, s57, s20                                    // 00000000631C: 80141439
	s_addc_u32 s21, 0, s21                                     // 000000006320: 82151580
	s_add_u32 s24, s58, s24                                    // 000000006324: 8018183A
	s_addc_u32 s25, 0, s25                                     // 000000006328: 82191980
	s_add_u32 s92, s90, s92                                    // 00000000632C: 805C5C5A
	s_addc_u32 s93, 0, s93                                     // 000000006330: 825D5D80
	s_addk_i32 s80, 0x100                                      // 000000006334: B7500100
	s_cmp_lt_i32 s80, s81                                      // 000000006338: BF045150
	s_cbranch_scc0 label_0E65                                  // 00000000633C: BF840115
	s_waitcnt vmcnt(35) lgkmcnt(0)                             // 000000006340: BF8C8073
	s_barrier                                                  // 000000006344: BF8A0000
	v_mfma_f32_16x16x128_f8f6f4 v[104:107], a[128:135], v[144:151], 0// 000000006348: D3AD0068 0A032180
	buffer_load_dwordx4 v[128:131], v34, s[20:23], 0 offen     // 000000006350: E05C1000 80058022
	buffer_load_dwordx4 v[132:135], v34, s[20:23], 0 offen offset:16// 000000006358: E05C1010 80058422
	buffer_load_dword v22, v11, s[32:35], 0 offen              // 000000006360: E0501000 8008160B
	buffer_load_dword v25, v13, s[32:35], 0 offen              // 000000006368: E0501000 8008190D
	buffer_load_dwordx4 a[64:67], v36, s[24:27], 0 offen       // 000000006370: E05C1000 80864024
	buffer_load_dwordx4 a[68:71], v36, s[24:27], 0 offen offset:1024// 000000006378: E05C1400 80864424
	buffer_load_dwordx4 a[72:75], v37, s[24:27], 0 offen       // 000000006380: E05C1000 80864825
	buffer_load_dwordx4 a[76:79], v37, s[24:27], 0 offen offset:1024// 000000006388: E05C1400 80864C25
	s_waitcnt vmcnt(35)                                        // 000000006390: BF8C8F73
	v_mfma_f32_16x16x128_f8f6f4 v[108:111], a[136:143], v[144:151], 0// 000000006394: D3AD006C 0A032188
	v_mul_f32_dpp v46, v23, v19 row_newbcast:0 row_mask:0xf bank_mask:0xf// 00000000639C: 0A5C26FA FF015017
	v_mov_b32_e32 v47, v46                                     // 0000000063A4: 7E5E032E
	v_pk_fma_f32 v[96:97], v[104:105], v[46:47], v[96:97]      // 0000000063A8: D3B04060 1D825D68
	v_pk_fma_f32 v[98:99], v[106:107], v[46:47], v[98:99]      // 0000000063B0: D3B04062 1D8A5D6A
	v_pk_fma_f32 v[100:101], v[108:109], v[46:47], v[100:101]  // 0000000063B8: D3B04064 1D925D6C
	v_pk_fma_f32 v[102:103], v[110:111], v[46:47], v[102:103]  // 0000000063C0: D3B04066 1D9A5D6E
	s_waitcnt vmcnt(33)                                        // 0000000063C8: BF8C8F71
	v_mfma_f32_16x16x128_f8f6f4 v[104:107], a[144:151], v[152:159], 0// 0000000063CC: D3AD0068 0A033190
	buffer_load_dwordx4 a[80:83], v36, s[24:27], 0 offen offset:2048// 0000000063D4: E05C1800 80865024
	buffer_load_dwordx4 a[84:87], v36, s[24:27], 0 offen offset:3072// 0000000063DC: E05C1C00 80865424
	buffer_load_dwordx4 a[88:91], v37, s[24:27], 0 offen offset:2048// 0000000063E4: E05C1800 80865825
	buffer_load_dwordx4 a[92:95], v37, s[24:27], 0 offen offset:3072// 0000000063EC: E05C1C00 80865C25
	s_waitcnt vmcnt(35)                                        // 0000000063F4: BF8C8F73
	v_mfma_f32_16x16x128_f8f6f4 v[108:111], a[152:159], v[152:159], 0// 0000000063F8: D3AD006C 0A033198
	v_mul_f32_dpp v46, v23, v20 row_newbcast:2 row_mask:0xf bank_mask:0xf// 000000006400: 0A5C28FA FF015217
	v_mov_b32_e32 v47, v46                                     // 000000006408: 7E5E032E
	v_pk_fma_f32 v[96:97], v[104:105], v[46:47], v[96:97]      // 00000000640C: D3B04060 1D825D68
	v_pk_fma_f32 v[98:99], v[106:107], v[46:47], v[98:99]      // 000000006414: D3B04062 1D8A5D6A
	v_pk_fma_f32 v[100:101], v[108:109], v[46:47], v[100:101]  // 00000000641C: D3B04064 1D925D6C
	v_pk_fma_f32 v[102:103], v[110:111], v[46:47], v[102:103]  // 000000006424: D3B04066 1D9A5D6E
	s_add_u32 s60, 0x300, s80                                  // 00000000642C: 803C50FF 00000300
	s_cmp_lt_u32 s60, s81                                      // 000000006434: BF0A513C
	s_cselect_b32 s4, s4, 0                                    // 000000006438: 85048004
	s_add_u32 s32, s4, s32                                     // 00000000643C: 80202004
	s_addc_u32 s33, 0, s33                                     // 000000006440: 82212180
	s_waitcnt vmcnt(21)                                        // 000000006444: BF8C4F75
	s_barrier                                                  // 000000006448: BF8A0000
	v_mfma_f32_16x16x128_f8f6f4 v[104:107], a[160:167], v[144:151], 0// 00000000644C: D3AD0068 0A0321A0
	buffer_load_dwordx4 a[96:99], v36, s[92:95], 0 offen       // 000000006454: E05C1000 80976024
	buffer_load_dwordx4 a[100:103], v36, s[92:95], 0 offen offset:1024// 00000000645C: E05C1400 80976424
	buffer_load_dwordx4 a[104:107], v37, s[92:95], 0 offen     // 000000006464: E05C1000 80976825
	buffer_load_dwordx4 a[108:111], v37, s[92:95], 0 offen offset:1024// 00000000646C: E05C1400 80976C25
	s_waitcnt vmcnt(25)                                        // 000000006474: BF8C4F79
	v_mfma_f32_16x16x128_f8f6f4 v[108:111], a[168:175], v[144:151], 0// 000000006478: D3AD006C 0A0321A8
	s_waitcnt vmcnt(22)                                        // 000000006480: BF8C4F76
	v_mov_b32_e32 v30, 0                                       // 000000006484: 7E3C0280
	v_lshlrev_b32_e32 v46, 16, v112                            // 000000006488: 245CE090
	v_and_b32_e32 v47, 0xffff0000, v112                        // 00000000648C: 265EE0FF FFFF0000
	v_max3_f32 v30, |v47|, |v46|, v30                          // 000000006494: D1D3031E 047A5D2F
	v_lshlrev_b32_e32 v46, 16, v113                            // 00000000649C: 245CE290
	v_and_b32_e32 v47, 0xffff0000, v113                        // 0000000064A0: 265EE2FF FFFF0000
	v_max3_f32 v30, |v47|, |v46|, v30                          // 0000000064A8: D1D3031E 047A5D2F
	v_lshlrev_b32_e32 v46, 16, v114                            // 0000000064B0: 245CE490
	v_and_b32_e32 v47, 0xffff0000, v114                        // 0000000064B4: 265EE4FF FFFF0000
	v_max3_f32 v30, |v47|, |v46|, v30                          // 0000000064BC: D1D3031E 047A5D2F
	v_lshlrev_b32_e32 v46, 16, v115                            // 0000000064C4: 245CE690
	v_and_b32_e32 v47, 0xffff0000, v115                        // 0000000064C8: 265EE6FF FFFF0000
	v_max3_f32 v30, |v47|, |v46|, v30                          // 0000000064D0: D1D3031E 047A5D2F
	v_lshlrev_b32_e32 v46, 16, v116                            // 0000000064D8: 245CE890
	v_and_b32_e32 v47, 0xffff0000, v116                        // 0000000064DC: 265EE8FF FFFF0000
	v_max3_f32 v30, |v47|, |v46|, v30                          // 0000000064E4: D1D3031E 047A5D2F
	v_lshlrev_b32_e32 v46, 16, v117                            // 0000000064EC: 245CEA90
	v_and_b32_e32 v47, 0xffff0000, v117                        // 0000000064F0: 265EEAFF FFFF0000
	v_max3_f32 v30, |v47|, |v46|, v30                          // 0000000064F8: D1D3031E 047A5D2F
	v_lshlrev_b32_e32 v46, 16, v118                            // 000000006500: 245CEC90
	v_and_b32_e32 v47, 0xffff0000, v118                        // 000000006504: 265EECFF FFFF0000
	v_max3_f32 v30, |v47|, |v46|, v30                          // 00000000650C: D1D3031E 047A5D2F
	v_lshlrev_b32_e32 v46, 16, v119                            // 000000006514: 245CEE90
	v_and_b32_e32 v47, 0xffff0000, v119                        // 000000006518: 265EEEFF FFFF0000
	v_max3_f32 v30, |v47|, |v46|, v30                          // 000000006520: D1D3031E 047A5D2F
	s_barrier                                                  // 000000006528: BF8A0000
	v_max_f32_dpp v31, v30, v30 quad_perm:[1,2,3,0] row_mask:0xf bank_mask:0xf// 00000000652C: 163E3CFA FF00391E
	s_nop 1                                                    // 000000006534: BF800001
	v_max_f32_dpp v46, v31, v31 quad_perm:[2,3,0,1] row_mask:0xf bank_mask:0xf// 000000006538: 165C3EFA FF004E1F
	s_nop 1                                                    // 000000006540: BF800001
	v_max_f32_dpp v30, v46, v46 row_half_mirror row_mask:0xf bank_mask:0xf// 000000006544: 163C5CFA FF01412E
	v_rcp_f32_e32 v46, v30                                     // 00000000654C: 7E5C451E
	v_mov_b32_e32 v47, 0x43e00000                              // 000000006550: 7E5E02FF 43E00000
	v_mul_f32_e32 v31, v47, v46                                // 000000006558: 0A3E5D2F
	v_mov_b32_e32 v30, v31                                     // 00000000655C: 7E3C031F
	v_lshlrev_b32_e32 v46, 16, v112                            // 000000006560: 245CE090
	v_and_b32_e32 v47, 0xffff0000, v112                        // 000000006564: 265EE0FF FFFF0000
	v_pk_mul_f32 v[46:47], v[46:47], v[30:31]                  // 00000000656C: D3B1402E 18023D2E
	v_cvt_pk_fp8_f32 v112, v46, v47                            // 000000006574: D2A20070 00025F2E
	v_lshlrev_b32_e32 v46, 16, v113                            // 00000000657C: 245CE290
	v_and_b32_e32 v47, 0xffff0000, v113                        // 000000006580: 265EE2FF FFFF0000
	v_pk_mul_f32 v[46:47], v[46:47], v[30:31]                  // 000000006588: D3B1402E 18023D2E
	v_cvt_pk_fp8_f32 v112, v46, v47 op_sel:[0,0,1]             // 000000006590: D2A24070 00025F2E
	v_lshlrev_b32_e32 v46, 16, v114                            // 000000006598: 245CE490
	v_and_b32_e32 v47, 0xffff0000, v114                        // 00000000659C: 265EE4FF FFFF0000
	v_pk_mul_f32 v[46:47], v[46:47], v[30:31]                  // 0000000065A4: D3B1402E 18023D2E
	v_cvt_pk_fp8_f32 v113, v46, v47                            // 0000000065AC: D2A20071 00025F2E
	v_lshlrev_b32_e32 v46, 16, v115                            // 0000000065B4: 245CE690
	v_and_b32_e32 v47, 0xffff0000, v115                        // 0000000065B8: 265EE6FF FFFF0000
	v_pk_mul_f32 v[46:47], v[46:47], v[30:31]                  // 0000000065C0: D3B1402E 18023D2E
	v_cvt_pk_fp8_f32 v113, v46, v47 op_sel:[0,0,1]             // 0000000065C8: D2A24071 00025F2E
	v_lshlrev_b32_e32 v46, 16, v116                            // 0000000065D0: 245CE890
	v_and_b32_e32 v47, 0xffff0000, v116                        // 0000000065D4: 265EE8FF FFFF0000
	v_pk_mul_f32 v[46:47], v[46:47], v[30:31]                  // 0000000065DC: D3B1402E 18023D2E
	v_cvt_pk_fp8_f32 v114, v46, v47                            // 0000000065E4: D2A20072 00025F2E
	v_lshlrev_b32_e32 v46, 16, v117                            // 0000000065EC: 245CEA90
	v_and_b32_e32 v47, 0xffff0000, v117                        // 0000000065F0: 265EEAFF FFFF0000
	v_pk_mul_f32 v[46:47], v[46:47], v[30:31]                  // 0000000065F8: D3B1402E 18023D2E
	v_cvt_pk_fp8_f32 v114, v46, v47 op_sel:[0,0,1]             // 000000006600: D2A24072 00025F2E
	v_lshlrev_b32_e32 v46, 16, v118                            // 000000006608: 245CEC90
	v_and_b32_e32 v47, 0xffff0000, v118                        // 00000000660C: 265EECFF FFFF0000
	v_pk_mul_f32 v[46:47], v[46:47], v[30:31]                  // 000000006614: D3B1402E 18023D2E
	v_cvt_pk_fp8_f32 v115, v46, v47                            // 00000000661C: D2A20073 00025F2E
	v_lshlrev_b32_e32 v46, 16, v119                            // 000000006624: 245CEE90
	v_and_b32_e32 v47, 0xffff0000, v119                        // 000000006628: 265EEEFF FFFF0000
	v_pk_mul_f32 v[46:47], v[46:47], v[30:31]                  // 000000006630: D3B1402E 18023D2E
	v_cvt_pk_fp8_f32 v115, v46, v47 op_sel:[0,0,1]             // 000000006638: D2A24073 00025F2E
	v_lshlrev_b32_e32 v46, 4, v0                               // 000000006640: 245C0084
	v_add_u32_e64 v46, v46, s50                                // 000000006644: D134002E 0000652E
	ds_write_b128 v46, v[112:115]                              // 00000000664C: D9BE0000 0000702E
	v_rcp_f32_e32 v32, v31                                     // 000000006654: 7E40451F
	v_add_u32_e32 v46, 0, v33                                  // 000000006658: 685C4280
	s_mov_b64 s[60:61], exec                                   // 00000000665C: BEBC017E
	s_mov_b32 s62, 0xf0f0f0f                                   // 000000006660: BEBE00FF 0F0F0F0F
	s_mov_b32 s63, 0xf0f0f0f                                   // 000000006668: BEBF00FF 0F0F0F0F
	s_mov_b64 exec, s[62:63]                                   // 000000006670: BEFE013E
	ds_write_b32 v46, v32 offset:4352                          // 000000006674: D81A1100 0000202E
	s_mov_b64 exec, s[60:61]                                   // 00000000667C: BEFE013C
	v_mul_f32_dpp v46, v26, v19 row_newbcast:0 row_mask:0xf bank_mask:0xf// 000000006680: 0A5C26FA FF01501A
	v_mov_b32_e32 v47, v46                                     // 000000006688: 7E5E032E
	v_pk_fma_f32 v[64:65], v[104:105], v[46:47], v[64:65]      // 00000000668C: D3B04040 1D025D68
	v_pk_fma_f32 v[66:67], v[106:107], v[46:47], v[66:67]      // 000000006694: D3B04042 1D0A5D6A
	v_pk_fma_f32 v[68:69], v[108:109], v[46:47], v[68:69]      // 00000000669C: D3B04044 1D125D6C
	v_pk_fma_f32 v[70:71], v[110:111], v[46:47], v[70:71]      // 0000000066A4: D3B04046 1D1A5D6E
	s_waitcnt vmcnt(23)                                        // 0000000066AC: BF8C4F77
	v_mfma_f32_16x16x128_f8f6f4 v[104:107], a[176:183], v[152:159], 0// 0000000066B0: D3AD0068 0A0331B0
	buffer_load_dwordx4 a[112:115], v36, s[92:95], 0 offen offset:2048// 0000000066B8: E05C1800 80977024
	buffer_load_dwordx4 a[116:119], v36, s[92:95], 0 offen offset:3072// 0000000066C0: E05C1C00 80977424
	buffer_load_dwordx4 a[120:123], v37, s[92:95], 0 offen offset:2048// 0000000066C8: E05C1800 80977825
	buffer_load_dwordx4 a[124:127], v37, s[92:95], 0 offen offset:3072// 0000000066D0: E05C1C00 80977C25
	s_waitcnt vmcnt(25)                                        // 0000000066D8: BF8C4F79
	v_mfma_f32_16x16x128_f8f6f4 v[108:111], a[184:191], v[152:159], 0// 0000000066DC: D3AD006C 0A0331B8
	s_waitcnt lgkmcnt(0)                                       // 0000000066E4: BF8CC07F
	s_barrier                                                  // 0000000066E8: BF8A0000
	ds_read_b128 v[112:115], v2                                // 0000000066EC: D9FE0000 70000002
	ds_read_b128 v[116:119], v2 offset:64                      // 0000000066F4: D9FE0040 74000002
	ds_read_b128 v[120:123], v2 offset:512                     // 0000000066FC: D9FE0200 78000002
	ds_read_b128 v[124:127], v2 offset:576                     // 000000006704: D9FE0240 7C000002
	ds_read_b32 v15, v3 offset:4352                            // 00000000670C: D86C1100 0F000003
	ds_read_b32 v16, v3 offset:4608                            // 000000006714: D86C1200 10000003
	v_mul_f32_dpp v46, v26, v20 row_newbcast:2 row_mask:0xf bank_mask:0xf// 00000000671C: 0A5C28FA FF01521A
	v_mov_b32_e32 v47, v46                                     // 000000006724: 7E5E032E
	v_pk_fma_f32 v[64:65], v[104:105], v[46:47], v[64:65]      // 000000006728: D3B04040 1D025D68
	v_pk_fma_f32 v[66:67], v[106:107], v[46:47], v[66:67]      // 000000006730: D3B04042 1D0A5D6A
	v_pk_fma_f32 v[68:69], v[108:109], v[46:47], v[68:69]      // 000000006738: D3B04044 1D125D6C
	v_pk_fma_f32 v[70:71], v[110:111], v[46:47], v[70:71]      // 000000006740: D3B04046 1D1A5D6E
	s_add_u32 s60, 0x300, s80                                  // 000000006748: 803C50FF 00000300
	s_cmp_lt_u32 s60, s81                                      // 000000006750: BF0A513C
	s_cselect_b32 s57, s57, 0                                  // 000000006754: 85398039
	s_add_u32 s60, 0x300, s80                                  // 000000006758: 803C50FF 00000300
	s_cmp_lt_u32 s60, s81                                      // 000000006760: BF0A513C
	s_cselect_b32 s58, s58, 0                                  // 000000006764: 853A803A
	s_cselect_b32 s90, s90, 0                                  // 000000006768: 855A805A
	s_add_u32 s20, s57, s20                                    // 00000000676C: 80141439
	s_addc_u32 s21, 0, s21                                     // 000000006770: 82151580
	s_add_u32 s24, s58, s24                                    // 000000006774: 8018183A
	s_addc_u32 s25, 0, s25                                     // 000000006778: 82191980
	s_add_u32 s92, s90, s92                                    // 00000000677C: 805C5C5A
	s_addc_u32 s93, 0, s93                                     // 000000006780: 825D5D80
	s_addk_i32 s80, 0x100                                      // 000000006784: B7500100
	s_cmp_lt_i32 s80, s81                                      // 000000006788: BF045150
	s_cbranch_scc0 label_0E65                                  // 00000000678C: BF840001
	s_branch label_0B28                                        // 000000006790: BF82FCC3

0000000000006794 <label_0E65>:
	s_mov_b32 s20, 0                                           // 000000006794: BE940080
	s_cmp_lt_u32 s89, s66                                      // 000000006798: BF0A4259
	s_cselect_b32 s60, 0, 1                                    // 00000000679C: 853C8180
	s_lshl1_add_u32 s20, s20, s60                              // 0000000067A0: 97143C14
	s_cmp_lt_u32 s88, s66                                      // 0000000067A4: BF0A4258
	s_cselect_b32 s60, 0, 1                                    // 0000000067A8: 853C8180
	s_lshl1_add_u32 s20, s20, s60                              // 0000000067AC: 97143C14
	s_cmp_lt_u32 s87, s66                                      // 0000000067B0: BF0A4257
	s_cselect_b32 s60, 0, 1                                    // 0000000067B4: 853C8180
	s_lshl1_add_u32 s20, s20, s60                              // 0000000067B8: 97143C14
	s_cmp_lt_u32 s86, s66                                      // 0000000067BC: BF0A4256
	s_cselect_b32 s60, 0, 1                                    // 0000000067C0: 853C8180
	s_lshl1_add_u32 s20, s20, s60                              // 0000000067C4: 97143C14
	s_cmp_lt_u32 s85, s66                                      // 0000000067C8: BF0A4255
	s_cselect_b32 s60, 0, 1                                    // 0000000067CC: 853C8180
	s_lshl1_add_u32 s20, s20, s60                              // 0000000067D0: 97143C14
	s_cmp_lt_u32 s84, s66                                      // 0000000067D4: BF0A4254
	s_cselect_b32 s60, 0, 1                                    // 0000000067D8: 853C8180
	s_lshl1_add_u32 s20, s20, s60                              // 0000000067DC: 97143C14
	s_cmp_lt_u32 s83, s66                                      // 0000000067E0: BF0A4253
	s_cselect_b32 s60, 0, 1                                    // 0000000067E4: 853C8180
	s_lshl1_add_u32 s20, s20, s60                              // 0000000067E8: 97143C14
	s_cmp_lt_u32 s82, s66                                      // 0000000067EC: BF0A4252
	s_cselect_b32 s60, 0, 1                                    // 0000000067F0: 853C8180
	s_lshl1_add_u32 s20, s20, s60                              // 0000000067F4: 97143C14
	s_waitcnt vmcnt(4)                                         // 0000000067F8: BF8C0F74
	buffer_load_dword v21, v6, s[16:19], 0 offen               // 0000000067FC: E0501000 80041506
	s_add_u32 s16, s79, s16                                    // 000000006804: 8010104F
	s_addc_u32 s17, 0, s17                                     // 000000006808: 82111180
	buffer_load_dwordx4 a[0:3], v38, s[12:15], 0 offen         // 00000000680C: E05C1000 80830026
	buffer_load_dwordx4 a[4:7], v38, s[12:15], 0 offen offset:1024// 000000006814: E05C1400 80830426
	buffer_load_dwordx4 a[8:11], v39, s[12:15], 0 offen        // 00000000681C: E05C1000 80830827
	buffer_load_dwordx4 a[12:15], v39, s[12:15], 0 offen offset:1024// 000000006824: E05C1400 80830C27
	v_mul_f32_e64 v46, -v96, s6                                // 00000000682C: D105002E 20000D60
	v_mul_f32_e64 v47, -v97, s6                                // 000000006834: D105002F 20000D61
	v_mul_f32_e64 v48, -v98, s6                                // 00000000683C: D1050030 20000D62
	v_mul_f32_e64 v49, -v99, s6                                // 000000006844: D1050031 20000D63
	v_exp_f32_e32 v46, v46                                     // 00000000684C: 7E5C412E
	v_exp_f32_e32 v47, v47                                     // 000000006850: 7E5E412F
	v_exp_f32_e32 v48, v48                                     // 000000006854: 7E604130
	v_exp_f32_e32 v49, v49                                     // 000000006858: 7E624131
	buffer_load_dwordx4 a[16:19], v40, s[12:15], 0 offen       // 00000000685C: E05C1000 80831028
	buffer_load_dwordx4 a[20:23], v40, s[12:15], 0 offen offset:1024// 000000006864: E05C1400 80831428
	buffer_load_dwordx4 a[24:27], v41, s[12:15], 0 offen       // 00000000686C: E05C1000 80831829
	buffer_load_dwordx4 a[28:31], v41, s[12:15], 0 offen offset:1024// 000000006874: E05C1400 80831C29
	s_add_u32 s12, s56, s12                                    // 00000000687C: 800C0C38
	s_addc_u32 s13, 0, s13                                     // 000000006880: 820D0D80
	v_add_f32_e64 v46, v46, 1.0                                // 000000006884: D101002E 0001E52E
	v_add_f32_e64 v47, v47, 1.0                                // 00000000688C: D101002F 0001E52F
	v_add_f32_e64 v48, v48, 1.0                                // 000000006894: D1010030 0001E530
	v_add_f32_e64 v49, v49, 1.0                                // 00000000689C: D1010031 0001E531
	v_rcp_f32_e32 v46, v46                                     // 0000000068A4: 7E5C452E
	v_rcp_f32_e32 v47, v47                                     // 0000000068A8: 7E5E452F
	v_rcp_f32_e32 v48, v48                                     // 0000000068AC: 7E604530
	v_rcp_f32_e32 v49, v49                                     // 0000000068B0: 7E624531
	v_mul_f32_e32 v96, v96, v46                                // 0000000068B4: 0AC05D60
	v_mul_f32_e32 v97, v97, v47                                // 0000000068B8: 0AC25F61
	v_mul_f32_e32 v98, v98, v48                                // 0000000068BC: 0AC46162
	v_mul_f32_e32 v99, v99, v49                                // 0000000068C0: 0AC66363
	v_mul_f32_e32 v96, v96, v64                                // 0000000068C4: 0AC08160
	v_mul_f32_e32 v97, v97, v65                                // 0000000068C8: 0AC28361
	v_mul_f32_e32 v98, v98, v66                                // 0000000068CC: 0AC48562
	v_mul_f32_e32 v99, v99, v67                                // 0000000068D0: 0AC68763
	s_waitcnt vmcnt(4)                                         // 0000000068D4: BF8C0F74
	buffer_load_dword v22, v6, s[16:19], 0 offen               // 0000000068D8: E0501000 80041606
	s_add_u32 s16, s79, s16                                    // 0000000068E0: 8010104F
	s_addc_u32 s17, 0, s17                                     // 0000000068E4: 82111180
	buffer_load_dwordx4 a[32:35], v38, s[12:15], 0 offen       // 0000000068E8: E05C1000 80832026
	buffer_load_dwordx4 a[36:39], v38, s[12:15], 0 offen offset:1024// 0000000068F0: E05C1400 80832426
	buffer_load_dwordx4 a[40:43], v39, s[12:15], 0 offen       // 0000000068F8: E05C1000 80832827
	buffer_load_dwordx4 a[44:47], v39, s[12:15], 0 offen offset:1024// 000000006900: E05C1400 80832C27
	v_mul_f32_e64 v46, -v100, s6                               // 000000006908: D105002E 20000D64
	v_mul_f32_e64 v47, -v101, s6                               // 000000006910: D105002F 20000D65
	v_mul_f32_e64 v48, -v102, s6                               // 000000006918: D1050030 20000D66
	v_mul_f32_e64 v49, -v103, s6                               // 000000006920: D1050031 20000D67
	v_exp_f32_e32 v46, v46                                     // 000000006928: 7E5C412E
	v_exp_f32_e32 v47, v47                                     // 00000000692C: 7E5E412F
	v_exp_f32_e32 v48, v48                                     // 000000006930: 7E604130
	v_exp_f32_e32 v49, v49                                     // 000000006934: 7E624131
	buffer_load_dwordx4 a[48:51], v40, s[12:15], 0 offen       // 000000006938: E05C1000 80833028
	buffer_load_dwordx4 a[52:55], v40, s[12:15], 0 offen offset:1024// 000000006940: E05C1400 80833428
	buffer_load_dwordx4 a[56:59], v41, s[12:15], 0 offen       // 000000006948: E05C1000 80833829
	buffer_load_dwordx4 a[60:63], v41, s[12:15], 0 offen offset:1024// 000000006950: E05C1400 80833C29
	s_add_u32 s12, s56, s12                                    // 000000006958: 800C0C38
	s_addc_u32 s13, 0, s13                                     // 00000000695C: 820D0D80
	v_add_f32_e64 v46, v46, 1.0                                // 000000006960: D101002E 0001E52E
	v_add_f32_e64 v47, v47, 1.0                                // 000000006968: D101002F 0001E52F
	v_add_f32_e64 v48, v48, 1.0                                // 000000006970: D1010030 0001E530
	v_add_f32_e64 v49, v49, 1.0                                // 000000006978: D1010031 0001E531
	v_rcp_f32_e32 v46, v46                                     // 000000006980: 7E5C452E
	v_rcp_f32_e32 v47, v47                                     // 000000006984: 7E5E452F
	v_rcp_f32_e32 v48, v48                                     // 000000006988: 7E604530
	v_rcp_f32_e32 v49, v49                                     // 00000000698C: 7E624531
	v_mul_f32_e32 v100, v100, v46                              // 000000006990: 0AC85D64
	v_mul_f32_e32 v101, v101, v47                              // 000000006994: 0ACA5F65
	v_mul_f32_e32 v102, v102, v48                              // 000000006998: 0ACC6166
	v_mul_f32_e32 v103, v103, v49                              // 00000000699C: 0ACE6367
	v_mul_f32_e32 v100, v100, v68                              // 0000000069A0: 0AC88964
	v_mul_f32_e32 v101, v101, v69                              // 0000000069A4: 0ACA8B65
	v_mul_f32_e32 v102, v102, v70                              // 0000000069A8: 0ACC8D66
	v_mul_f32_e32 v103, v103, v71                              // 0000000069AC: 0ACE8F67
	v_lshlrev_b32_e32 v46, 2, v0                               // 0000000069B0: 245C0082
	s_mul_i32 s60, s82, s71                                    // 0000000069B4: 923C4752
	v_add_u32_e64 v80, v46, s60                                // 0000000069B8: D1340050 0000792E
	v_mov_b32_e32 v81, 0                                       // 0000000069C0: 7EA20280
	s_mul_i32 s60, s83, s71                                    // 0000000069C4: 923C4753
	v_add_u32_e64 v82, v46, s60                                // 0000000069C8: D1340052 0000792E
	v_mov_b32_e32 v83, 0                                       // 0000000069D0: 7EA60280
	s_mul_i32 s60, s84, s71                                    // 0000000069D4: 923C4754
	v_add_u32_e64 v84, v46, s60                                // 0000000069D8: D1340054 0000792E
	v_mov_b32_e32 v85, 0                                       // 0000000069E0: 7EAA0280
	s_mul_i32 s60, s85, s71                                    // 0000000069E4: 923C4755
	v_add_u32_e64 v86, v46, s60                                // 0000000069E8: D1340056 0000792E
	v_mov_b32_e32 v87, 0                                       // 0000000069F0: 7EAE0280
	v_mov_b32_e32 v30, 0x358637bd                              // 0000000069F4: 7E3C02FF 358637BD
	v_max3_f32 v30, |v96|, |v97|, v30                          // 0000000069FC: D1D3031E 047AC360
	v_max3_f32 v30, |v98|, |v99|, v30                          // 000000006A04: D1D3031E 047AC762
	v_max3_f32 v30, |v100|, |v101|, v30                        // 000000006A0C: D1D3031E 047ACB64
	v_max3_f32 v30, |v102|, |v103|, v30                        // 000000006A14: D1D3031E 047ACF66
	v_mov_b32_e32 v46, v30                                     // 000000006A1C: 7E5C031E
	s_nop 1                                                    // 000000006A20: BF800001
	v_permlane32_swap_b32_e32 v46, v30                         // 000000006A24: 7E5CB51E
	v_max_f32_e32 v30, v46, v30                                // 000000006A28: 163C3D2E
	v_mov_b32_e32 v46, v30                                     // 000000006A2C: 7E5C031E
	s_nop 1                                                    // 000000006A30: BF800001
	v_permlane16_swap_b32_e32 v46, v30                         // 000000006A34: 7E5CB31E
	v_max_f32_e32 v30, v46, v30                                // 000000006A38: 163C3D2E
	v_lshlrev_b32_e32 v46, 2, v0                               // 000000006A3C: 245C0082
	s_mul_i32 s60, 64, s7                                      // 000000006A40: 923C07C0
	v_add_u32_e32 v46, s60, v46                                // 000000006A44: 685C5C3C
	s_mov_b32 s60, 0xffff                                      // 000000006A48: BEBC00FF 0000FFFF
	s_mov_b32 s61, 0                                           // 000000006A50: BEBD0080
	s_mov_b64 exec, s[60:61]                                   // 000000006A54: BEFE013C
	ds_write_b32 v46, v30 offset:16128                         // 000000006A58: D81A3F00 00001E2E
	s_mov_b32 s60, -1                                          // 000000006A60: BEBC00C1
	s_mov_b32 s61, -1                                          // 000000006A64: BEBD00C1
	s_mov_b64 exec, s[60:61]                                   // 000000006A68: BEFE013C
	s_waitcnt lgkmcnt(0)                                       // 000000006A6C: BF8CC07F
	s_barrier                                                  // 000000006A70: BF8A0000
	v_lshlrev_b32_e32 v46, 2, v0                               // 000000006A74: 245C0082
	ds_read_b32 v104, v46 offset:16128                         // 000000006A78: D86C3F00 6800002E
	s_waitcnt lgkmcnt(0)                                       // 000000006A80: BF8CC07F
	v_mov_b32_e32 v46, v104                                    // 000000006A84: 7E5C0368
	s_nop 1                                                    // 000000006A88: BF800001
	v_permlane32_swap_b32_e32 v46, v104                        // 000000006A8C: 7E5CB568
	v_max_f32_e32 v104, v46, v104                              // 000000006A90: 16D0D12E
	v_mov_b32_e32 v46, v104                                    // 000000006A94: 7E5C0368
	s_nop 1                                                    // 000000006A98: BF800001
	v_permlane16_swap_b32_e32 v46, v104                        // 000000006A9C: 7E5CB368
	v_max_f32_e32 v104, v46, v104                              // 000000006AA0: 16D0D12E
	v_max_f32_e32 v30, v104, v30                               // 000000006AA4: 163C3D68
	v_rcp_f32_e32 v30, v30                                     // 000000006AA8: 7E3C451E
	v_mov_b32_e32 v46, 0x43e00000                              // 000000006AAC: 7E5C02FF 43E00000
	v_mul_f32_e32 v30, v46, v30                                // 000000006AB4: 0A3C3D2E
	v_mul_f32_e32 v96, v30, v96                                // 000000006AB8: 0AC0C11E
	v_mul_f32_e32 v97, v30, v97                                // 000000006ABC: 0AC2C31E
	v_mul_f32_e32 v98, v30, v98                                // 000000006AC0: 0AC4C51E
	v_mul_f32_e32 v99, v30, v99                                // 000000006AC4: 0AC6C71E
	v_cvt_pk_fp8_f32 v96, v96, v97                             // 000000006AC8: D2A20060 0002C360
	v_cvt_pk_fp8_f32 v96, v98, v99 op_sel:[0,0,1]              // 000000006AD0: D2A24060 0002C762
	v_mul_f32_e32 v100, v30, v100                              // 000000006AD8: 0AC8C91E
	v_mul_f32_e32 v101, v30, v101                              // 000000006ADC: 0ACACB1E
	v_mul_f32_e32 v102, v30, v102                              // 000000006AE0: 0ACCCD1E
	v_mul_f32_e32 v103, v30, v103                              // 000000006AE4: 0ACECF1E
	v_cvt_pk_fp8_f32 v97, v100, v101                           // 000000006AE8: D2A20061 0002CB64
	v_cvt_pk_fp8_f32 v97, v102, v103 op_sel:[0,0,1]            // 000000006AF0: D2A24061 0002CF66
	v_rcp_f32_e32 v32, v30                                     // 000000006AF8: 7E40451E
	v_nop                                                      // 000000006AFC: 7E000000
	v_lshrrev_b32_e32 v46, 5, v0                               // 000000006B00: 205C0085
	v_lshlrev_b32_e32 v47, 6, v46                              // 000000006B04: 245E5C86
	v_and_b32_e32 v46, 31, v0                                  // 000000006B08: 265C009F
	v_lshrrev_b32_e32 v48, 4, v46                              // 000000006B0C: 20605C84
	v_add_u32_e32 v47, v48, v47                                // 000000006B10: 685E5F30
	v_and_b32_e32 v46, 15, v0                                  // 000000006B14: 265C008F
	v_lshlrev_b32_e32 v46, 1, v46                              // 000000006B18: 245C5C81
	v_add_u32_e32 v47, v46, v47                                // 000000006B1C: 685E5F2E
	v_lshlrev_b32_e32 v46, 2, v47                              // 000000006B20: 245C5E82
	s_mov_b32 s60, 0                                           // 000000006B24: BEBC0080
	s_lshr_b32 s61, s7, 1                                      // 000000006B28: 8F3D8107
	s_mul_i32 s61, s61, 0x200                                  // 000000006B2C: 923DFF3D 00000200
	s_add_u32 s60, s61, s60                                    // 000000006B34: 803C3C3D
	s_and_b32 s61, s7, 1                                       // 000000006B38: 863D8107
	s_mul_i32 s61, s61, 0x80                                   // 000000006B3C: 923DFF3D 00000080
	s_add_u32 s60, s61, s60                                    // 000000006B44: 803C3C3D
	v_add_u32_e64 v46, v46, s60                                // 000000006B48: D134002E 0000792E
	ds_write_b32 v46, v96 offset:17152                         // 000000006B50: D81A4300 0000602E
	ds_write_b32 v46, v97 offset:18176                         // 000000006B58: D81A4700 0000612E
	s_waitcnt lgkmcnt(0)                                       // 000000006B60: BF8CC07F
	s_barrier                                                  // 000000006B64: BF8A0000
	v_and_b32_e32 v46, 31, v0                                  // 000000006B68: 265C009F
	v_lshrrev_b32_e32 v46, 4, v46                              // 000000006B6C: 205C5C84
	v_lshlrev_b32_e32 v47, 5, v46                              // 000000006B70: 245E5C85
	v_lshrrev_b32_e32 v46, 5, v0                               // 000000006B74: 205C0085
	v_lshlrev_b32_e32 v46, 7, v46                              // 000000006B78: 245C5C87
	v_add_u32_e32 v47, v46, v47                                // 000000006B7C: 685E5F2E
	v_and_b32_e32 v46, 15, v0                                  // 000000006B80: 265C008F
	v_lshlrev_b32_e32 v46, 1, v46                              // 000000006B84: 245C5C81
	v_add_u32_e32 v47, v46, v47                                // 000000006B88: 685E5F2E
	v_lshlrev_b32_e32 v46, 2, v47                              // 000000006B8C: 245C5E82
	ds_read_b64 v[96:97], v46 offset:17152                     // 000000006B90: D8EC4300 6000002E
	ds_read_b64 v[98:99], v46 offset:17408                     // 000000006B98: D8EC4400 6200002E
	ds_read_b64 v[100:101], v46 offset:18176                   // 000000006BA0: D8EC4700 6400002E
	ds_read_b64 v[102:103], v46 offset:18432                   // 000000006BA8: D8EC4800 6600002E
	s_waitcnt lgkmcnt(0)                                       // 000000006BB0: BF8CC07F
	s_barrier                                                  // 000000006BB4: BF8A0000
	v_mov_b32_e32 v112, 0                                      // 000000006BB8: 7EE00280
	v_mov_b32_e32 v128, 0                                      // 000000006BBC: 7F000280
	v_mov_b32_e32 v113, 0                                      // 000000006BC0: 7EE20280
	v_mov_b32_e32 v129, 0                                      // 000000006BC4: 7F020280
	v_mov_b32_e32 v114, 0                                      // 000000006BC8: 7EE40280
	v_mov_b32_e32 v130, 0                                      // 000000006BCC: 7F040280
	v_mov_b32_e32 v115, 0                                      // 000000006BD0: 7EE60280
	v_mov_b32_e32 v131, 0                                      // 000000006BD4: 7F060280
	v_mov_b32_e32 v116, 0                                      // 000000006BD8: 7EE80280
	v_mov_b32_e32 v132, 0                                      // 000000006BDC: 7F080280
	v_mov_b32_e32 v117, 0                                      // 000000006BE0: 7EEA0280
	v_mov_b32_e32 v133, 0                                      // 000000006BE4: 7F0A0280
	v_mov_b32_e32 v118, 0                                      // 000000006BE8: 7EEC0280
	v_mov_b32_e32 v134, 0                                      // 000000006BEC: 7F0C0280
	v_mov_b32_e32 v119, 0                                      // 000000006BF0: 7EEE0280
	v_mov_b32_e32 v135, 0                                      // 000000006BF4: 7F0E0280
	v_mov_b32_e32 v120, 0                                      // 000000006BF8: 7EF00280
	v_mov_b32_e32 v136, 0                                      // 000000006BFC: 7F100280
	v_mov_b32_e32 v121, 0                                      // 000000006C00: 7EF20280
	v_mov_b32_e32 v137, 0                                      // 000000006C04: 7F120280
	v_mov_b32_e32 v122, 0                                      // 000000006C08: 7EF40280
	v_mov_b32_e32 v138, 0                                      // 000000006C0C: 7F140280
	v_mov_b32_e32 v123, 0                                      // 000000006C10: 7EF60280
	v_mov_b32_e32 v139, 0                                      // 000000006C14: 7F160280
	v_mov_b32_e32 v124, 0                                      // 000000006C18: 7EF80280
	v_mov_b32_e32 v140, 0                                      // 000000006C1C: 7F180280
	v_mov_b32_e32 v125, 0                                      // 000000006C20: 7EFA0280
	v_mov_b32_e32 v141, 0                                      // 000000006C24: 7F1A0280
	v_mov_b32_e32 v126, 0                                      // 000000006C28: 7EFC0280
	v_mov_b32_e32 v142, 0                                      // 000000006C2C: 7F1C0280
	v_mov_b32_e32 v127, 0                                      // 000000006C30: 7EFE0280
	v_mov_b32_e32 v143, 0                                      // 000000006C34: 7F1E0280
	ds_write_b64 v4, v[112:113] offset:17152                   // 000000006C38: D89A4300 00007004
	ds_write_b64 v4, v[114:115] offset:19328                   // 000000006C40: D89A4B80 00007204
	ds_write_b64 v4, v[116:117] offset:21504                   // 000000006C48: D89A5400 00007404
	ds_write_b64 v4, v[118:119] offset:23680                   // 000000006C50: D89A5C80 00007604
	s_mov_b32 s80, 0                                           // 000000006C58: BED00080

0000000000006c5c <label_0F97>:
	s_waitcnt vmcnt(13) lgkmcnt(0)                             // 000000006C5C: BF8C007D
	s_barrier                                                  // 000000006C60: BF8A0000
	v_mfma_f32_16x16x128_f8f6f4 v[112:115], a[0:7], v[96:103], 0// 000000006C64: D3AD0070 0A02C100
	buffer_load_dword v23, v6, s[16:19], 0 offen               // 000000006C6C: E0501000 80041706
	buffer_load_dwordx4 a[64:67], v38, s[12:15], 0 offen       // 000000006C74: E05C1000 80834026
	buffer_load_dwordx4 a[68:71], v38, s[12:15], 0 offen offset:1024// 000000006C7C: E05C1400 80834426
	buffer_load_dwordx4 a[72:75], v39, s[12:15], 0 offen       // 000000006C84: E05C1000 80834827
	buffer_load_dwordx4 a[76:79], v39, s[12:15], 0 offen offset:1024// 000000006C8C: E05C1400 80834C27
	v_mfma_f32_16x16x128_f8f6f4 v[116:119], a[8:15], v[96:103], 0// 000000006C94: D3AD0074 0A02C108
	ds_read_b32 v64, v5 offset:17152                           // 000000006C9C: D86C4300 40000005
	ds_read_b32 v65, v5 offset:21504                           // 000000006CA4: D86C5400 41000005
	ds_read_b32 v66, v5 offset:17160                           // 000000006CAC: D86C4308 42000005
	ds_read_b32 v67, v5 offset:21512                           // 000000006CB4: D86C5408 43000005
	ds_read_b32 v68, v5 offset:17184                           // 000000006CBC: D86C4320 44000005
	ds_read_b32 v69, v5 offset:21536                           // 000000006CC4: D86C5420 45000005
	ds_read_b32 v70, v5 offset:17192                           // 000000006CCC: D86C4328 46000005
	ds_read_b32 v71, v5 offset:21544                           // 000000006CD4: D86C5428 47000005
	s_waitcnt vmcnt(13)                                        // 000000006CDC: BF8C0F7D
	v_mfma_f32_16x16x128_f8f6f4 v[120:123], a[16:23], v[96:103], 0// 000000006CE0: D3AD0078 0A02C110
	buffer_load_dwordx4 a[80:83], v40, s[12:15], 0 offen       // 000000006CE8: E05C1000 80835028
	buffer_load_dwordx4 a[84:87], v40, s[12:15], 0 offen offset:1024// 000000006CF0: E05C1400 80835428
	buffer_load_dwordx4 a[88:91], v41, s[12:15], 0 offen       // 000000006CF8: E05C1000 80835829
	buffer_load_dwordx4 a[92:95], v41, s[12:15], 0 offen offset:1024// 000000006D00: E05C1400 80835C29
	v_mfma_f32_16x16x128_f8f6f4 v[124:127], a[24:31], v[96:103], 0// 000000006D08: D3AD007C 0A02C118
	ds_write_b64 v4, v[128:129] offset:34560                   // 000000006D10: D89A8700 00008004
	ds_write_b64 v4, v[130:131] offset:36736                   // 000000006D18: D89A8F80 00008204
	ds_write_b64 v4, v[132:133] offset:38912                   // 000000006D20: D89A9800 00008404
	ds_write_b64 v4, v[134:135] offset:41088                   // 000000006D28: D89AA080 00008604
	v_mul_f32_dpp v46, v21, v32 row_newbcast:0 row_mask:0xf bank_mask:0xf// 000000006D30: 0A5C40FA FF015015
	v_mov_b32_e32 v47, v46                                     // 000000006D38: 7E5E032E
	v_pk_mul_f32 v[112:113], v[46:47], v[112:113]              // 000000006D3C: D3B14070 1802E12E
	v_pk_mul_f32 v[114:115], v[46:47], v[114:115]              // 000000006D44: D3B14072 1802E52E
	v_pk_mul_f32 v[116:117], v[46:47], v[116:117]              // 000000006D4C: D3B14074 1802E92E
	v_pk_mul_f32 v[118:119], v[46:47], v[118:119]              // 000000006D54: D3B14076 1802ED2E
	v_mul_f32_dpp v46, v21, v32 row_newbcast:1 row_mask:0xf bank_mask:0xf// 000000006D5C: 0A5C40FA FF015115
	v_mov_b32_e32 v47, v46                                     // 000000006D64: 7E5E032E
	v_pk_mul_f32 v[120:121], v[46:47], v[120:121]              // 000000006D68: D3B14078 1802F12E
	v_pk_mul_f32 v[122:123], v[46:47], v[122:123]              // 000000006D70: D3B1407A 1802F52E
	v_pk_mul_f32 v[124:125], v[46:47], v[124:125]              // 000000006D78: D3B1407C 1802F92E
	v_pk_mul_f32 v[126:127], v[46:47], v[126:127]              // 000000006D80: D3B1407E 1802FD2E
	s_add_u32 s60, 0x300, s80                                  // 000000006D88: 803C50FF 00000300
	s_cmp_lt_u32 s60, s81                                      // 000000006D90: BF0A513C
	s_cselect_b32 s56, s56, 0                                  // 000000006D94: 85388038
	s_cselect_b32 s78, s78, 0                                  // 000000006D98: 854E804E
	s_cselect_b32 s79, s79, 0                                  // 000000006D9C: 854F804F
	s_add_u32 s12, s56, s12                                    // 000000006DA0: 800C0C38
	s_addc_u32 s13, 0, s13                                     // 000000006DA4: 820D0D80
	s_add_u32 s16, s79, s16                                    // 000000006DA8: 8010104F
	s_addc_u32 s17, 0, s17                                     // 000000006DAC: 82111180
	v_mov_b32_e32 v46, v27                                     // 000000006DB0: 7E5C031B
	v_mov_b32_e32 v47, v27                                     // 000000006DB4: 7E5E031B
	v_pk_mul_f32 v[112:113], v[46:47], v[112:113]              // 000000006DB8: D3B14070 1802E12E
	v_pk_mul_f32 v[114:115], v[46:47], v[114:115]              // 000000006DC0: D3B14072 1802E52E
	v_pk_mul_f32 v[116:117], v[46:47], v[116:117]              // 000000006DC8: D3B14074 1802E92E
	v_pk_mul_f32 v[118:119], v[46:47], v[118:119]              // 000000006DD0: D3B14076 1802ED2E
	v_pk_mul_f32 v[120:121], v[46:47], v[120:121]              // 000000006DD8: D3B14078 1802F12E
	v_pk_mul_f32 v[122:123], v[46:47], v[122:123]              // 000000006DE0: D3B1407A 1802F52E
	v_pk_mul_f32 v[124:125], v[46:47], v[124:125]              // 000000006DE8: D3B1407C 1802F92E
	v_pk_mul_f32 v[126:127], v[46:47], v[126:127]              // 000000006DF0: D3B1407E 1802FD2E
	v_cvt_pk_bf16_f32 v112, v112, v113                         // 000000006DF8: D2680070 0002E370
	v_cvt_pk_bf16_f32 v113, v114, v115                         // 000000006E00: D2680071 0002E772
	v_cvt_pk_bf16_f32 v114, v116, v117                         // 000000006E08: D2680072 0002EB74
	v_cvt_pk_bf16_f32 v115, v118, v119                         // 000000006E10: D2680073 0002EF76
	v_cvt_pk_bf16_f32 v116, v120, v121                         // 000000006E18: D2680074 0002F378
	v_cvt_pk_bf16_f32 v117, v122, v123                         // 000000006E20: D2680075 0002F77A
	v_cvt_pk_bf16_f32 v118, v124, v125                         // 000000006E28: D2680076 0002FB7C
	v_cvt_pk_bf16_f32 v119, v126, v127                         // 000000006E30: D2680077 0002FF7E
	s_cmp_ge_u32 s80, 0x200                                    // 000000006E38: BF09FF50 00000200
	s_cselect_b32 s59, 0x200, s59                              // 000000006E40: 853B3BFF 00000200
	s_waitcnt lgkmcnt(0)                                       // 000000006E48: BF8CC07F
	s_barrier                                                  // 000000006E4C: BF8A0000
	s_setvskip s20, 0                                          // 000000006E50: BF108014
	global_atomic_pk_add_bf16 v80, v64, s[8:9]                 // 000000006E54: DD488000 00084050
	s_setvskip 0, 0                                            // 000000006E5C: BF108080
	s_setvskip s20, 0                                          // 000000006E60: BF108014
	global_atomic_pk_add_bf16 v80, v65, s[8:9] offset:256      // 000000006E64: DD488100 00084150
	s_setvskip 0, 0                                            // 000000006E6C: BF108080
	s_setvskip s20, 1                                          // 000000006E70: BF108114
	global_atomic_pk_add_bf16 v82, v66, s[8:9]                 // 000000006E74: DD488000 00084252
	s_setvskip 0, 0                                            // 000000006E7C: BF108080
	s_setvskip s20, 1                                          // 000000006E80: BF108114
	global_atomic_pk_add_bf16 v82, v67, s[8:9] offset:256      // 000000006E84: DD488100 00084352
	s_setvskip 0, 0                                            // 000000006E8C: BF108080
	s_setvskip s20, 2                                          // 000000006E90: BF108214
	global_atomic_pk_add_bf16 v84, v68, s[8:9]                 // 000000006E94: DD488000 00084454
	s_setvskip 0, 0                                            // 000000006E9C: BF108080
	s_setvskip s20, 2                                          // 000000006EA0: BF108214
	global_atomic_pk_add_bf16 v84, v69, s[8:9] offset:256      // 000000006EA4: DD488100 00084554
	s_setvskip 0, 0                                            // 000000006EAC: BF108080
	s_setvskip s20, 3                                          // 000000006EB0: BF108314
	global_atomic_pk_add_bf16 v86, v70, s[8:9]                 // 000000006EB4: DD488000 00084656
	s_setvskip 0, 0                                            // 000000006EBC: BF108080
	s_setvskip s20, 3                                          // 000000006EC0: BF108314
	global_atomic_pk_add_bf16 v86, v71, s[8:9] offset:256      // 000000006EC4: DD488100 00084756
	s_setvskip 0, 0                                            // 000000006ECC: BF108080
	s_add_u32 s8, s59, s8                                      // 000000006ED0: 8008083B
	s_addc_u32 s9, 0, s9                                       // 000000006ED4: 82090980
	s_addk_i32 s80, 0x100                                      // 000000006ED8: B7500100
	s_cmp_lt_i32 s80, s81                                      // 000000006EDC: BF045150
	s_cbranch_scc0 label_0B25                                  // 000000006EE0: BF84FAEC
	s_waitcnt vmcnt(13) lgkmcnt(0)                             // 000000006EE4: BF8C007D
	s_barrier                                                  // 000000006EE8: BF8A0000
	v_mfma_f32_16x16x128_f8f6f4 v[128:131], a[32:39], v[96:103], 0// 000000006EEC: D3AD0080 0A02C120
	buffer_load_dword v21, v6, s[16:19], 0 offen               // 000000006EF4: E0501000 80041506
	buffer_load_dwordx4 a[0:3], v38, s[12:15], 0 offen         // 000000006EFC: E05C1000 80830026
	buffer_load_dwordx4 a[4:7], v38, s[12:15], 0 offen offset:1024// 000000006F04: E05C1400 80830426
	buffer_load_dwordx4 a[8:11], v39, s[12:15], 0 offen        // 000000006F0C: E05C1000 80830827
	buffer_load_dwordx4 a[12:15], v39, s[12:15], 0 offen offset:1024// 000000006F14: E05C1400 80830C27
	v_mfma_f32_16x16x128_f8f6f4 v[132:135], a[40:47], v[96:103], 0// 000000006F1C: D3AD0084 0A02C128
	ds_read_b32 v64, v5 offset:34560                           // 000000006F24: D86C8700 40000005
	ds_read_b32 v65, v5 offset:38912                           // 000000006F2C: D86C9800 41000005
	ds_read_b32 v66, v5 offset:34568                           // 000000006F34: D86C8708 42000005
	ds_read_b32 v67, v5 offset:38920                           // 000000006F3C: D86C9808 43000005
	ds_read_b32 v68, v5 offset:34592                           // 000000006F44: D86C8720 44000005
	ds_read_b32 v69, v5 offset:38944                           // 000000006F4C: D86C9820 45000005
	ds_read_b32 v70, v5 offset:34600                           // 000000006F54: D86C8728 46000005
	ds_read_b32 v71, v5 offset:38952                           // 000000006F5C: D86C9828 47000005
	s_waitcnt vmcnt(13)                                        // 000000006F64: BF8C0F7D
	v_mfma_f32_16x16x128_f8f6f4 v[136:139], a[48:55], v[96:103], 0// 000000006F68: D3AD0088 0A02C130
	buffer_load_dwordx4 a[16:19], v40, s[12:15], 0 offen       // 000000006F70: E05C1000 80831028
	buffer_load_dwordx4 a[20:23], v40, s[12:15], 0 offen offset:1024// 000000006F78: E05C1400 80831428
	buffer_load_dwordx4 a[24:27], v41, s[12:15], 0 offen       // 000000006F80: E05C1000 80831829
	buffer_load_dwordx4 a[28:31], v41, s[12:15], 0 offen offset:1024// 000000006F88: E05C1400 80831C29
	v_mfma_f32_16x16x128_f8f6f4 v[140:143], a[56:63], v[96:103], 0// 000000006F90: D3AD008C 0A02C138
	ds_write_b64 v4, v[112:113] offset:17152                   // 000000006F98: D89A4300 00007004
	ds_write_b64 v4, v[114:115] offset:19328                   // 000000006FA0: D89A4B80 00007204
	ds_write_b64 v4, v[116:117] offset:21504                   // 000000006FA8: D89A5400 00007404
	ds_write_b64 v4, v[118:119] offset:23680                   // 000000006FB0: D89A5C80 00007604
	v_mul_f32_dpp v46, v22, v32 row_newbcast:0 row_mask:0xf bank_mask:0xf// 000000006FB8: 0A5C40FA FF015016
	v_mov_b32_e32 v47, v46                                     // 000000006FC0: 7E5E032E
	v_pk_mul_f32 v[128:129], v[46:47], v[128:129]              // 000000006FC4: D3B14080 1803012E
	v_pk_mul_f32 v[130:131], v[46:47], v[130:131]              // 000000006FCC: D3B14082 1803052E
	v_pk_mul_f32 v[132:133], v[46:47], v[132:133]              // 000000006FD4: D3B14084 1803092E
	v_pk_mul_f32 v[134:135], v[46:47], v[134:135]              // 000000006FDC: D3B14086 18030D2E
	v_mul_f32_dpp v46, v22, v32 row_newbcast:1 row_mask:0xf bank_mask:0xf// 000000006FE4: 0A5C40FA FF015116
	v_mov_b32_e32 v47, v46                                     // 000000006FEC: 7E5E032E
	v_pk_mul_f32 v[136:137], v[46:47], v[136:137]              // 000000006FF0: D3B14088 1803112E
	v_pk_mul_f32 v[138:139], v[46:47], v[138:139]              // 000000006FF8: D3B1408A 1803152E
	v_pk_mul_f32 v[140:141], v[46:47], v[140:141]              // 000000007000: D3B1408C 1803192E
	v_pk_mul_f32 v[142:143], v[46:47], v[142:143]              // 000000007008: D3B1408E 18031D2E
	s_add_u32 s60, 0x300, s80                                  // 000000007010: 803C50FF 00000300
	s_cmp_lt_u32 s60, s81                                      // 000000007018: BF0A513C
	s_cselect_b32 s56, s56, 0                                  // 00000000701C: 85388038
	s_cselect_b32 s78, s78, 0                                  // 000000007020: 854E804E
	s_cselect_b32 s79, s79, 0                                  // 000000007024: 854F804F
	s_add_u32 s12, s56, s12                                    // 000000007028: 800C0C38
	s_addc_u32 s13, 0, s13                                     // 00000000702C: 820D0D80
	s_add_u32 s16, s79, s16                                    // 000000007030: 8010104F
	s_addc_u32 s17, 0, s17                                     // 000000007034: 82111180
	v_mov_b32_e32 v46, v27                                     // 000000007038: 7E5C031B
	v_mov_b32_e32 v47, v27                                     // 00000000703C: 7E5E031B
	v_pk_mul_f32 v[128:129], v[46:47], v[128:129]              // 000000007040: D3B14080 1803012E
	v_pk_mul_f32 v[130:131], v[46:47], v[130:131]              // 000000007048: D3B14082 1803052E
	v_pk_mul_f32 v[132:133], v[46:47], v[132:133]              // 000000007050: D3B14084 1803092E
	v_pk_mul_f32 v[134:135], v[46:47], v[134:135]              // 000000007058: D3B14086 18030D2E
	v_pk_mul_f32 v[136:137], v[46:47], v[136:137]              // 000000007060: D3B14088 1803112E
	v_pk_mul_f32 v[138:139], v[46:47], v[138:139]              // 000000007068: D3B1408A 1803152E
	v_pk_mul_f32 v[140:141], v[46:47], v[140:141]              // 000000007070: D3B1408C 1803192E
	v_pk_mul_f32 v[142:143], v[46:47], v[142:143]              // 000000007078: D3B1408E 18031D2E
	v_cvt_pk_bf16_f32 v128, v128, v129                         // 000000007080: D2680080 00030380
	v_cvt_pk_bf16_f32 v129, v130, v131                         // 000000007088: D2680081 00030782
	v_cvt_pk_bf16_f32 v130, v132, v133                         // 000000007090: D2680082 00030B84
	v_cvt_pk_bf16_f32 v131, v134, v135                         // 000000007098: D2680083 00030F86
	v_cvt_pk_bf16_f32 v132, v136, v137                         // 0000000070A0: D2680084 00031388
	v_cvt_pk_bf16_f32 v133, v138, v139                         // 0000000070A8: D2680085 0003178A
	v_cvt_pk_bf16_f32 v134, v140, v141                         // 0000000070B0: D2680086 00031B8C
	v_cvt_pk_bf16_f32 v135, v142, v143                         // 0000000070B8: D2680087 00031F8E
	s_cmp_ge_u32 s80, 0x200                                    // 0000000070C0: BF09FF50 00000200
	s_cselect_b32 s59, 0x200, s59                              // 0000000070C8: 853B3BFF 00000200
	s_waitcnt lgkmcnt(0)                                       // 0000000070D0: BF8CC07F
	s_barrier                                                  // 0000000070D4: BF8A0000
	s_setvskip s20, 0                                          // 0000000070D8: BF108014
	global_atomic_pk_add_bf16 v80, v64, s[8:9]                 // 0000000070DC: DD488000 00084050
	s_setvskip 0, 0                                            // 0000000070E4: BF108080
	s_setvskip s20, 0                                          // 0000000070E8: BF108014
	global_atomic_pk_add_bf16 v80, v65, s[8:9] offset:256      // 0000000070EC: DD488100 00084150
	s_setvskip 0, 0                                            // 0000000070F4: BF108080
	s_setvskip s20, 1                                          // 0000000070F8: BF108114
	global_atomic_pk_add_bf16 v82, v66, s[8:9]                 // 0000000070FC: DD488000 00084252
	s_setvskip 0, 0                                            // 000000007104: BF108080
	s_setvskip s20, 1                                          // 000000007108: BF108114
	global_atomic_pk_add_bf16 v82, v67, s[8:9] offset:256      // 00000000710C: DD488100 00084352
	s_setvskip 0, 0                                            // 000000007114: BF108080
	s_setvskip s20, 2                                          // 000000007118: BF108214
	global_atomic_pk_add_bf16 v84, v68, s[8:9]                 // 00000000711C: DD488000 00084454
	s_setvskip 0, 0                                            // 000000007124: BF108080
	s_setvskip s20, 2                                          // 000000007128: BF108214
	global_atomic_pk_add_bf16 v84, v69, s[8:9] offset:256      // 00000000712C: DD488100 00084554
	s_setvskip 0, 0                                            // 000000007134: BF108080
	s_setvskip s20, 3                                          // 000000007138: BF108314
	global_atomic_pk_add_bf16 v86, v70, s[8:9]                 // 00000000713C: DD488000 00084656
	s_setvskip 0, 0                                            // 000000007144: BF108080
	s_setvskip s20, 3                                          // 000000007148: BF108314
	global_atomic_pk_add_bf16 v86, v71, s[8:9] offset:256      // 00000000714C: DD488100 00084756
	s_setvskip 0, 0                                            // 000000007154: BF108080
	s_add_u32 s8, s59, s8                                      // 000000007158: 8008083B
	s_addc_u32 s9, 0, s9                                       // 00000000715C: 82090980
	s_addk_i32 s80, 0x100                                      // 000000007160: B7500100
	s_cmp_lt_i32 s80, s81                                      // 000000007164: BF045150
	s_cbranch_scc0 label_0B25                                  // 000000007168: BF84FA4A
	s_waitcnt vmcnt(13) lgkmcnt(0)                             // 00000000716C: BF8C007D
	s_barrier                                                  // 000000007170: BF8A0000
	v_mfma_f32_16x16x128_f8f6f4 v[112:115], a[64:71], v[96:103], 0// 000000007174: D3AD0070 0A02C140
	buffer_load_dword v22, v6, s[16:19], 0 offen               // 00000000717C: E0501000 80041606
	buffer_load_dwordx4 a[32:35], v38, s[12:15], 0 offen       // 000000007184: E05C1000 80832026
	buffer_load_dwordx4 a[36:39], v38, s[12:15], 0 offen offset:1024// 00000000718C: E05C1400 80832426
	buffer_load_dwordx4 a[40:43], v39, s[12:15], 0 offen       // 000000007194: E05C1000 80832827
	buffer_load_dwordx4 a[44:47], v39, s[12:15], 0 offen offset:1024// 00000000719C: E05C1400 80832C27
	v_mfma_f32_16x16x128_f8f6f4 v[116:119], a[72:79], v[96:103], 0// 0000000071A4: D3AD0074 0A02C148
	ds_read_b32 v64, v5 offset:17152                           // 0000000071AC: D86C4300 40000005
	ds_read_b32 v65, v5 offset:21504                           // 0000000071B4: D86C5400 41000005
	ds_read_b32 v66, v5 offset:17160                           // 0000000071BC: D86C4308 42000005
	ds_read_b32 v67, v5 offset:21512                           // 0000000071C4: D86C5408 43000005
	ds_read_b32 v68, v5 offset:17184                           // 0000000071CC: D86C4320 44000005
	ds_read_b32 v69, v5 offset:21536                           // 0000000071D4: D86C5420 45000005
	ds_read_b32 v70, v5 offset:17192                           // 0000000071DC: D86C4328 46000005
	ds_read_b32 v71, v5 offset:21544                           // 0000000071E4: D86C5428 47000005
	s_waitcnt vmcnt(13)                                        // 0000000071EC: BF8C0F7D
	v_mfma_f32_16x16x128_f8f6f4 v[120:123], a[80:87], v[96:103], 0// 0000000071F0: D3AD0078 0A02C150
	buffer_load_dwordx4 a[48:51], v40, s[12:15], 0 offen       // 0000000071F8: E05C1000 80833028
	buffer_load_dwordx4 a[52:55], v40, s[12:15], 0 offen offset:1024// 000000007200: E05C1400 80833428
	buffer_load_dwordx4 a[56:59], v41, s[12:15], 0 offen       // 000000007208: E05C1000 80833829
	buffer_load_dwordx4 a[60:63], v41, s[12:15], 0 offen offset:1024// 000000007210: E05C1400 80833C29
	v_mfma_f32_16x16x128_f8f6f4 v[124:127], a[88:95], v[96:103], 0// 000000007218: D3AD007C 0A02C158
	ds_write_b64 v4, v[128:129] offset:34560                   // 000000007220: D89A8700 00008004
	ds_write_b64 v4, v[130:131] offset:36736                   // 000000007228: D89A8F80 00008204
	ds_write_b64 v4, v[132:133] offset:38912                   // 000000007230: D89A9800 00008404
	ds_write_b64 v4, v[134:135] offset:41088                   // 000000007238: D89AA080 00008604
	v_mul_f32_dpp v46, v23, v32 row_newbcast:0 row_mask:0xf bank_mask:0xf// 000000007240: 0A5C40FA FF015017
	v_mov_b32_e32 v47, v46                                     // 000000007248: 7E5E032E
	v_pk_mul_f32 v[112:113], v[46:47], v[112:113]              // 00000000724C: D3B14070 1802E12E
	v_pk_mul_f32 v[114:115], v[46:47], v[114:115]              // 000000007254: D3B14072 1802E52E
	v_pk_mul_f32 v[116:117], v[46:47], v[116:117]              // 00000000725C: D3B14074 1802E92E
	v_pk_mul_f32 v[118:119], v[46:47], v[118:119]              // 000000007264: D3B14076 1802ED2E
	v_mul_f32_dpp v46, v23, v32 row_newbcast:1 row_mask:0xf bank_mask:0xf// 00000000726C: 0A5C40FA FF015117
	v_mov_b32_e32 v47, v46                                     // 000000007274: 7E5E032E
	v_pk_mul_f32 v[120:121], v[46:47], v[120:121]              // 000000007278: D3B14078 1802F12E
	v_pk_mul_f32 v[122:123], v[46:47], v[122:123]              // 000000007280: D3B1407A 1802F52E
	v_pk_mul_f32 v[124:125], v[46:47], v[124:125]              // 000000007288: D3B1407C 1802F92E
	v_pk_mul_f32 v[126:127], v[46:47], v[126:127]              // 000000007290: D3B1407E 1802FD2E
	s_add_u32 s60, 0x300, s80                                  // 000000007298: 803C50FF 00000300
	s_cmp_lt_u32 s60, s81                                      // 0000000072A0: BF0A513C
	s_cselect_b32 s56, s56, 0                                  // 0000000072A4: 85388038
	s_cselect_b32 s78, s78, 0                                  // 0000000072A8: 854E804E
	s_cselect_b32 s79, s79, 0                                  // 0000000072AC: 854F804F
	s_add_u32 s12, s56, s12                                    // 0000000072B0: 800C0C38
	s_addc_u32 s13, 0, s13                                     // 0000000072B4: 820D0D80
	s_add_u32 s16, s79, s16                                    // 0000000072B8: 8010104F
	s_addc_u32 s17, 0, s17                                     // 0000000072BC: 82111180
	v_mov_b32_e32 v46, v27                                     // 0000000072C0: 7E5C031B
	v_mov_b32_e32 v47, v27                                     // 0000000072C4: 7E5E031B
	v_pk_mul_f32 v[112:113], v[46:47], v[112:113]              // 0000000072C8: D3B14070 1802E12E
	v_pk_mul_f32 v[114:115], v[46:47], v[114:115]              // 0000000072D0: D3B14072 1802E52E
	v_pk_mul_f32 v[116:117], v[46:47], v[116:117]              // 0000000072D8: D3B14074 1802E92E
	v_pk_mul_f32 v[118:119], v[46:47], v[118:119]              // 0000000072E0: D3B14076 1802ED2E
	v_pk_mul_f32 v[120:121], v[46:47], v[120:121]              // 0000000072E8: D3B14078 1802F12E
	v_pk_mul_f32 v[122:123], v[46:47], v[122:123]              // 0000000072F0: D3B1407A 1802F52E
	v_pk_mul_f32 v[124:125], v[46:47], v[124:125]              // 0000000072F8: D3B1407C 1802F92E
	v_pk_mul_f32 v[126:127], v[46:47], v[126:127]              // 000000007300: D3B1407E 1802FD2E
	v_cvt_pk_bf16_f32 v112, v112, v113                         // 000000007308: D2680070 0002E370
	v_cvt_pk_bf16_f32 v113, v114, v115                         // 000000007310: D2680071 0002E772
	v_cvt_pk_bf16_f32 v114, v116, v117                         // 000000007318: D2680072 0002EB74
	v_cvt_pk_bf16_f32 v115, v118, v119                         // 000000007320: D2680073 0002EF76
	v_cvt_pk_bf16_f32 v116, v120, v121                         // 000000007328: D2680074 0002F378
	v_cvt_pk_bf16_f32 v117, v122, v123                         // 000000007330: D2680075 0002F77A
	v_cvt_pk_bf16_f32 v118, v124, v125                         // 000000007338: D2680076 0002FB7C
	v_cvt_pk_bf16_f32 v119, v126, v127                         // 000000007340: D2680077 0002FF7E
	s_cmp_ge_u32 s80, 0x200                                    // 000000007348: BF09FF50 00000200
	s_cselect_b32 s59, 0x200, s59                              // 000000007350: 853B3BFF 00000200
	s_waitcnt lgkmcnt(0)                                       // 000000007358: BF8CC07F
	s_barrier                                                  // 00000000735C: BF8A0000
	s_setvskip s20, 0                                          // 000000007360: BF108014
	global_atomic_pk_add_bf16 v80, v64, s[8:9]                 // 000000007364: DD488000 00084050
	s_setvskip 0, 0                                            // 00000000736C: BF108080
	s_setvskip s20, 0                                          // 000000007370: BF108014
	global_atomic_pk_add_bf16 v80, v65, s[8:9] offset:256      // 000000007374: DD488100 00084150
	s_setvskip 0, 0                                            // 00000000737C: BF108080
	s_setvskip s20, 1                                          // 000000007380: BF108114
	global_atomic_pk_add_bf16 v82, v66, s[8:9]                 // 000000007384: DD488000 00084252
	s_setvskip 0, 0                                            // 00000000738C: BF108080
	s_setvskip s20, 1                                          // 000000007390: BF108114
	global_atomic_pk_add_bf16 v82, v67, s[8:9] offset:256      // 000000007394: DD488100 00084352
	s_setvskip 0, 0                                            // 00000000739C: BF108080
	s_setvskip s20, 2                                          // 0000000073A0: BF108214
	global_atomic_pk_add_bf16 v84, v68, s[8:9]                 // 0000000073A4: DD488000 00084454
	s_setvskip 0, 0                                            // 0000000073AC: BF108080
	s_setvskip s20, 2                                          // 0000000073B0: BF108214
	global_atomic_pk_add_bf16 v84, v69, s[8:9] offset:256      // 0000000073B4: DD488100 00084554
	s_setvskip 0, 0                                            // 0000000073BC: BF108080
	s_setvskip s20, 3                                          // 0000000073C0: BF108314
	global_atomic_pk_add_bf16 v86, v70, s[8:9]                 // 0000000073C4: DD488000 00084656
	s_setvskip 0, 0                                            // 0000000073CC: BF108080
	s_setvskip s20, 3                                          // 0000000073D0: BF108314
	global_atomic_pk_add_bf16 v86, v71, s[8:9] offset:256      // 0000000073D4: DD488100 00084756
	s_setvskip 0, 0                                            // 0000000073DC: BF108080
	s_add_u32 s8, s59, s8                                      // 0000000073E0: 8008083B
	s_addc_u32 s9, 0, s9                                       // 0000000073E4: 82090980
	s_addk_i32 s80, 0x100                                      // 0000000073E8: B7500100
	s_cmp_lt_i32 s80, s81                                      // 0000000073EC: BF045150
	s_cbranch_scc0 label_0B25                                  // 0000000073F0: BF84F9A8
	s_waitcnt vmcnt(13) lgkmcnt(0)                             // 0000000073F4: BF8C007D
	s_barrier                                                  // 0000000073F8: BF8A0000
	v_mfma_f32_16x16x128_f8f6f4 v[128:131], a[0:7], v[96:103], 0// 0000000073FC: D3AD0080 0A02C100
	buffer_load_dword v23, v6, s[16:19], 0 offen               // 000000007404: E0501000 80041706
	buffer_load_dwordx4 a[64:67], v38, s[12:15], 0 offen       // 00000000740C: E05C1000 80834026
	buffer_load_dwordx4 a[68:71], v38, s[12:15], 0 offen offset:1024// 000000007414: E05C1400 80834426
	buffer_load_dwordx4 a[72:75], v39, s[12:15], 0 offen       // 00000000741C: E05C1000 80834827
	buffer_load_dwordx4 a[76:79], v39, s[12:15], 0 offen offset:1024// 000000007424: E05C1400 80834C27
	v_mfma_f32_16x16x128_f8f6f4 v[132:135], a[8:15], v[96:103], 0// 00000000742C: D3AD0084 0A02C108
	ds_read_b32 v64, v5 offset:34560                           // 000000007434: D86C8700 40000005
	ds_read_b32 v65, v5 offset:38912                           // 00000000743C: D86C9800 41000005
	ds_read_b32 v66, v5 offset:34568                           // 000000007444: D86C8708 42000005
	ds_read_b32 v67, v5 offset:38920                           // 00000000744C: D86C9808 43000005
	ds_read_b32 v68, v5 offset:34592                           // 000000007454: D86C8720 44000005
	ds_read_b32 v69, v5 offset:38944                           // 00000000745C: D86C9820 45000005
	ds_read_b32 v70, v5 offset:34600                           // 000000007464: D86C8728 46000005
	ds_read_b32 v71, v5 offset:38952                           // 00000000746C: D86C9828 47000005
	s_waitcnt vmcnt(13)                                        // 000000007474: BF8C0F7D
	v_mfma_f32_16x16x128_f8f6f4 v[136:139], a[16:23], v[96:103], 0// 000000007478: D3AD0088 0A02C110
	buffer_load_dwordx4 a[80:83], v40, s[12:15], 0 offen       // 000000007480: E05C1000 80835028
	buffer_load_dwordx4 a[84:87], v40, s[12:15], 0 offen offset:1024// 000000007488: E05C1400 80835428
	buffer_load_dwordx4 a[88:91], v41, s[12:15], 0 offen       // 000000007490: E05C1000 80835829
	buffer_load_dwordx4 a[92:95], v41, s[12:15], 0 offen offset:1024// 000000007498: E05C1400 80835C29
	v_mfma_f32_16x16x128_f8f6f4 v[140:143], a[24:31], v[96:103], 0// 0000000074A0: D3AD008C 0A02C118
	ds_write_b64 v4, v[112:113] offset:17152                   // 0000000074A8: D89A4300 00007004
	ds_write_b64 v4, v[114:115] offset:19328                   // 0000000074B0: D89A4B80 00007204
	ds_write_b64 v4, v[116:117] offset:21504                   // 0000000074B8: D89A5400 00007404
	ds_write_b64 v4, v[118:119] offset:23680                   // 0000000074C0: D89A5C80 00007604
	v_mul_f32_dpp v46, v21, v32 row_newbcast:0 row_mask:0xf bank_mask:0xf// 0000000074C8: 0A5C40FA FF015015
	v_mov_b32_e32 v47, v46                                     // 0000000074D0: 7E5E032E
	v_pk_mul_f32 v[128:129], v[46:47], v[128:129]              // 0000000074D4: D3B14080 1803012E
	v_pk_mul_f32 v[130:131], v[46:47], v[130:131]              // 0000000074DC: D3B14082 1803052E
	v_pk_mul_f32 v[132:133], v[46:47], v[132:133]              // 0000000074E4: D3B14084 1803092E
	v_pk_mul_f32 v[134:135], v[46:47], v[134:135]              // 0000000074EC: D3B14086 18030D2E
	v_mul_f32_dpp v46, v21, v32 row_newbcast:1 row_mask:0xf bank_mask:0xf// 0000000074F4: 0A5C40FA FF015115
	v_mov_b32_e32 v47, v46                                     // 0000000074FC: 7E5E032E
	v_pk_mul_f32 v[136:137], v[46:47], v[136:137]              // 000000007500: D3B14088 1803112E
	v_pk_mul_f32 v[138:139], v[46:47], v[138:139]              // 000000007508: D3B1408A 1803152E
	v_pk_mul_f32 v[140:141], v[46:47], v[140:141]              // 000000007510: D3B1408C 1803192E
	v_pk_mul_f32 v[142:143], v[46:47], v[142:143]              // 000000007518: D3B1408E 18031D2E
	s_add_u32 s60, 0x300, s80                                  // 000000007520: 803C50FF 00000300
	s_cmp_lt_u32 s60, s81                                      // 000000007528: BF0A513C
	s_cselect_b32 s56, s56, 0                                  // 00000000752C: 85388038
	s_cselect_b32 s78, s78, 0                                  // 000000007530: 854E804E
	s_cselect_b32 s79, s79, 0                                  // 000000007534: 854F804F
	s_add_u32 s12, s56, s12                                    // 000000007538: 800C0C38
	s_addc_u32 s13, 0, s13                                     // 00000000753C: 820D0D80
	s_add_u32 s16, s79, s16                                    // 000000007540: 8010104F
	s_addc_u32 s17, 0, s17                                     // 000000007544: 82111180
	v_mov_b32_e32 v46, v27                                     // 000000007548: 7E5C031B
	v_mov_b32_e32 v47, v27                                     // 00000000754C: 7E5E031B
	v_pk_mul_f32 v[128:129], v[46:47], v[128:129]              // 000000007550: D3B14080 1803012E
	v_pk_mul_f32 v[130:131], v[46:47], v[130:131]              // 000000007558: D3B14082 1803052E
	v_pk_mul_f32 v[132:133], v[46:47], v[132:133]              // 000000007560: D3B14084 1803092E
	v_pk_mul_f32 v[134:135], v[46:47], v[134:135]              // 000000007568: D3B14086 18030D2E
	v_pk_mul_f32 v[136:137], v[46:47], v[136:137]              // 000000007570: D3B14088 1803112E
	v_pk_mul_f32 v[138:139], v[46:47], v[138:139]              // 000000007578: D3B1408A 1803152E
	v_pk_mul_f32 v[140:141], v[46:47], v[140:141]              // 000000007580: D3B1408C 1803192E
	v_pk_mul_f32 v[142:143], v[46:47], v[142:143]              // 000000007588: D3B1408E 18031D2E
	v_cvt_pk_bf16_f32 v128, v128, v129                         // 000000007590: D2680080 00030380
	v_cvt_pk_bf16_f32 v129, v130, v131                         // 000000007598: D2680081 00030782
	v_cvt_pk_bf16_f32 v130, v132, v133                         // 0000000075A0: D2680082 00030B84
	v_cvt_pk_bf16_f32 v131, v134, v135                         // 0000000075A8: D2680083 00030F86
	v_cvt_pk_bf16_f32 v132, v136, v137                         // 0000000075B0: D2680084 00031388
	v_cvt_pk_bf16_f32 v133, v138, v139                         // 0000000075B8: D2680085 0003178A
	v_cvt_pk_bf16_f32 v134, v140, v141                         // 0000000075C0: D2680086 00031B8C
	v_cvt_pk_bf16_f32 v135, v142, v143                         // 0000000075C8: D2680087 00031F8E
	s_cmp_ge_u32 s80, 0x200                                    // 0000000075D0: BF09FF50 00000200
	s_cselect_b32 s59, 0x200, s59                              // 0000000075D8: 853B3BFF 00000200
	s_waitcnt lgkmcnt(0)                                       // 0000000075E0: BF8CC07F
	s_barrier                                                  // 0000000075E4: BF8A0000
	s_setvskip s20, 0                                          // 0000000075E8: BF108014
	global_atomic_pk_add_bf16 v80, v64, s[8:9]                 // 0000000075EC: DD488000 00084050
	s_setvskip 0, 0                                            // 0000000075F4: BF108080
	s_setvskip s20, 0                                          // 0000000075F8: BF108014
	global_atomic_pk_add_bf16 v80, v65, s[8:9] offset:256      // 0000000075FC: DD488100 00084150
	s_setvskip 0, 0                                            // 000000007604: BF108080
	s_setvskip s20, 1                                          // 000000007608: BF108114
	global_atomic_pk_add_bf16 v82, v66, s[8:9]                 // 00000000760C: DD488000 00084252
	s_setvskip 0, 0                                            // 000000007614: BF108080
	s_setvskip s20, 1                                          // 000000007618: BF108114
	global_atomic_pk_add_bf16 v82, v67, s[8:9] offset:256      // 00000000761C: DD488100 00084352
	s_setvskip 0, 0                                            // 000000007624: BF108080
	s_setvskip s20, 2                                          // 000000007628: BF108214
	global_atomic_pk_add_bf16 v84, v68, s[8:9]                 // 00000000762C: DD488000 00084454
	s_setvskip 0, 0                                            // 000000007634: BF108080
	s_setvskip s20, 2                                          // 000000007638: BF108214
	global_atomic_pk_add_bf16 v84, v69, s[8:9] offset:256      // 00000000763C: DD488100 00084554
	s_setvskip 0, 0                                            // 000000007644: BF108080
	s_setvskip s20, 3                                          // 000000007648: BF108314
	global_atomic_pk_add_bf16 v86, v70, s[8:9]                 // 00000000764C: DD488000 00084656
	s_setvskip 0, 0                                            // 000000007654: BF108080
	s_setvskip s20, 3                                          // 000000007658: BF108314
	global_atomic_pk_add_bf16 v86, v71, s[8:9] offset:256      // 00000000765C: DD488100 00084756
	s_setvskip 0, 0                                            // 000000007664: BF108080
	s_add_u32 s8, s59, s8                                      // 000000007668: 8008083B
	s_addc_u32 s9, 0, s9                                       // 00000000766C: 82090980
	s_addk_i32 s80, 0x100                                      // 000000007670: B7500100
	s_cmp_lt_i32 s80, s81                                      // 000000007674: BF045150
	s_cbranch_scc0 label_0B25                                  // 000000007678: BF84F906
	s_waitcnt vmcnt(13) lgkmcnt(0)                             // 00000000767C: BF8C007D
	s_barrier                                                  // 000000007680: BF8A0000
	v_mfma_f32_16x16x128_f8f6f4 v[112:115], a[32:39], v[96:103], 0// 000000007684: D3AD0070 0A02C120
	buffer_load_dword v21, v6, s[16:19], 0 offen               // 00000000768C: E0501000 80041506
	buffer_load_dwordx4 a[0:3], v38, s[12:15], 0 offen         // 000000007694: E05C1000 80830026
	buffer_load_dwordx4 a[4:7], v38, s[12:15], 0 offen offset:1024// 00000000769C: E05C1400 80830426
	buffer_load_dwordx4 a[8:11], v39, s[12:15], 0 offen        // 0000000076A4: E05C1000 80830827
	buffer_load_dwordx4 a[12:15], v39, s[12:15], 0 offen offset:1024// 0000000076AC: E05C1400 80830C27
	v_mfma_f32_16x16x128_f8f6f4 v[116:119], a[40:47], v[96:103], 0// 0000000076B4: D3AD0074 0A02C128
	ds_read_b32 v64, v5 offset:17152                           // 0000000076BC: D86C4300 40000005
	ds_read_b32 v65, v5 offset:21504                           // 0000000076C4: D86C5400 41000005
	ds_read_b32 v66, v5 offset:17160                           // 0000000076CC: D86C4308 42000005
	ds_read_b32 v67, v5 offset:21512                           // 0000000076D4: D86C5408 43000005
	ds_read_b32 v68, v5 offset:17184                           // 0000000076DC: D86C4320 44000005
	ds_read_b32 v69, v5 offset:21536                           // 0000000076E4: D86C5420 45000005
	ds_read_b32 v70, v5 offset:17192                           // 0000000076EC: D86C4328 46000005
	ds_read_b32 v71, v5 offset:21544                           // 0000000076F4: D86C5428 47000005
	s_waitcnt vmcnt(13)                                        // 0000000076FC: BF8C0F7D
	v_mfma_f32_16x16x128_f8f6f4 v[120:123], a[48:55], v[96:103], 0// 000000007700: D3AD0078 0A02C130
	buffer_load_dwordx4 a[16:19], v40, s[12:15], 0 offen       // 000000007708: E05C1000 80831028
	buffer_load_dwordx4 a[20:23], v40, s[12:15], 0 offen offset:1024// 000000007710: E05C1400 80831428
	buffer_load_dwordx4 a[24:27], v41, s[12:15], 0 offen       // 000000007718: E05C1000 80831829
	buffer_load_dwordx4 a[28:31], v41, s[12:15], 0 offen offset:1024// 000000007720: E05C1400 80831C29
	v_mfma_f32_16x16x128_f8f6f4 v[124:127], a[56:63], v[96:103], 0// 000000007728: D3AD007C 0A02C138
	ds_write_b64 v4, v[128:129] offset:34560                   // 000000007730: D89A8700 00008004
	ds_write_b64 v4, v[130:131] offset:36736                   // 000000007738: D89A8F80 00008204
	ds_write_b64 v4, v[132:133] offset:38912                   // 000000007740: D89A9800 00008404
	ds_write_b64 v4, v[134:135] offset:41088                   // 000000007748: D89AA080 00008604
	v_mul_f32_dpp v46, v22, v32 row_newbcast:0 row_mask:0xf bank_mask:0xf// 000000007750: 0A5C40FA FF015016
	v_mov_b32_e32 v47, v46                                     // 000000007758: 7E5E032E
	v_pk_mul_f32 v[112:113], v[46:47], v[112:113]              // 00000000775C: D3B14070 1802E12E
	v_pk_mul_f32 v[114:115], v[46:47], v[114:115]              // 000000007764: D3B14072 1802E52E
	v_pk_mul_f32 v[116:117], v[46:47], v[116:117]              // 00000000776C: D3B14074 1802E92E
	v_pk_mul_f32 v[118:119], v[46:47], v[118:119]              // 000000007774: D3B14076 1802ED2E
	v_mul_f32_dpp v46, v22, v32 row_newbcast:1 row_mask:0xf bank_mask:0xf// 00000000777C: 0A5C40FA FF015116
	v_mov_b32_e32 v47, v46                                     // 000000007784: 7E5E032E
	v_pk_mul_f32 v[120:121], v[46:47], v[120:121]              // 000000007788: D3B14078 1802F12E
	v_pk_mul_f32 v[122:123], v[46:47], v[122:123]              // 000000007790: D3B1407A 1802F52E
	v_pk_mul_f32 v[124:125], v[46:47], v[124:125]              // 000000007798: D3B1407C 1802F92E
	v_pk_mul_f32 v[126:127], v[46:47], v[126:127]              // 0000000077A0: D3B1407E 1802FD2E
	s_add_u32 s60, 0x300, s80                                  // 0000000077A8: 803C50FF 00000300
	s_cmp_lt_u32 s60, s81                                      // 0000000077B0: BF0A513C
	s_cselect_b32 s56, s56, 0                                  // 0000000077B4: 85388038
	s_cselect_b32 s78, s78, 0                                  // 0000000077B8: 854E804E
	s_cselect_b32 s79, s79, 0                                  // 0000000077BC: 854F804F
	s_add_u32 s12, s56, s12                                    // 0000000077C0: 800C0C38
	s_addc_u32 s13, 0, s13                                     // 0000000077C4: 820D0D80
	s_add_u32 s16, s79, s16                                    // 0000000077C8: 8010104F
	s_addc_u32 s17, 0, s17                                     // 0000000077CC: 82111180
	v_mov_b32_e32 v46, v27                                     // 0000000077D0: 7E5C031B
	v_mov_b32_e32 v47, v27                                     // 0000000077D4: 7E5E031B
	v_pk_mul_f32 v[112:113], v[46:47], v[112:113]              // 0000000077D8: D3B14070 1802E12E
	v_pk_mul_f32 v[114:115], v[46:47], v[114:115]              // 0000000077E0: D3B14072 1802E52E
	v_pk_mul_f32 v[116:117], v[46:47], v[116:117]              // 0000000077E8: D3B14074 1802E92E
	v_pk_mul_f32 v[118:119], v[46:47], v[118:119]              // 0000000077F0: D3B14076 1802ED2E
	v_pk_mul_f32 v[120:121], v[46:47], v[120:121]              // 0000000077F8: D3B14078 1802F12E
	v_pk_mul_f32 v[122:123], v[46:47], v[122:123]              // 000000007800: D3B1407A 1802F52E
	v_pk_mul_f32 v[124:125], v[46:47], v[124:125]              // 000000007808: D3B1407C 1802F92E
	v_pk_mul_f32 v[126:127], v[46:47], v[126:127]              // 000000007810: D3B1407E 1802FD2E
	v_cvt_pk_bf16_f32 v112, v112, v113                         // 000000007818: D2680070 0002E370
	v_cvt_pk_bf16_f32 v113, v114, v115                         // 000000007820: D2680071 0002E772
	v_cvt_pk_bf16_f32 v114, v116, v117                         // 000000007828: D2680072 0002EB74
	v_cvt_pk_bf16_f32 v115, v118, v119                         // 000000007830: D2680073 0002EF76
	v_cvt_pk_bf16_f32 v116, v120, v121                         // 000000007838: D2680074 0002F378
	v_cvt_pk_bf16_f32 v117, v122, v123                         // 000000007840: D2680075 0002F77A
	v_cvt_pk_bf16_f32 v118, v124, v125                         // 000000007848: D2680076 0002FB7C
	v_cvt_pk_bf16_f32 v119, v126, v127                         // 000000007850: D2680077 0002FF7E
	s_cmp_ge_u32 s80, 0x200                                    // 000000007858: BF09FF50 00000200
	s_cselect_b32 s59, 0x200, s59                              // 000000007860: 853B3BFF 00000200
	s_waitcnt lgkmcnt(0)                                       // 000000007868: BF8CC07F
	s_barrier                                                  // 00000000786C: BF8A0000
	s_setvskip s20, 0                                          // 000000007870: BF108014
	global_atomic_pk_add_bf16 v80, v64, s[8:9]                 // 000000007874: DD488000 00084050
	s_setvskip 0, 0                                            // 00000000787C: BF108080
	s_setvskip s20, 0                                          // 000000007880: BF108014
	global_atomic_pk_add_bf16 v80, v65, s[8:9] offset:256      // 000000007884: DD488100 00084150
	s_setvskip 0, 0                                            // 00000000788C: BF108080
	s_setvskip s20, 1                                          // 000000007890: BF108114
	global_atomic_pk_add_bf16 v82, v66, s[8:9]                 // 000000007894: DD488000 00084252
	s_setvskip 0, 0                                            // 00000000789C: BF108080
	s_setvskip s20, 1                                          // 0000000078A0: BF108114
	global_atomic_pk_add_bf16 v82, v67, s[8:9] offset:256      // 0000000078A4: DD488100 00084352
	s_setvskip 0, 0                                            // 0000000078AC: BF108080
	s_setvskip s20, 2                                          // 0000000078B0: BF108214
	global_atomic_pk_add_bf16 v84, v68, s[8:9]                 // 0000000078B4: DD488000 00084454
	s_setvskip 0, 0                                            // 0000000078BC: BF108080
	s_setvskip s20, 2                                          // 0000000078C0: BF108214
	global_atomic_pk_add_bf16 v84, v69, s[8:9] offset:256      // 0000000078C4: DD488100 00084554
	s_setvskip 0, 0                                            // 0000000078CC: BF108080
	s_setvskip s20, 3                                          // 0000000078D0: BF108314
	global_atomic_pk_add_bf16 v86, v70, s[8:9]                 // 0000000078D4: DD488000 00084656
	s_setvskip 0, 0                                            // 0000000078DC: BF108080
	s_setvskip s20, 3                                          // 0000000078E0: BF108314
	global_atomic_pk_add_bf16 v86, v71, s[8:9] offset:256      // 0000000078E4: DD488100 00084756
	s_setvskip 0, 0                                            // 0000000078EC: BF108080
	s_add_u32 s8, s59, s8                                      // 0000000078F0: 8008083B
	s_addc_u32 s9, 0, s9                                       // 0000000078F4: 82090980
	s_addk_i32 s80, 0x100                                      // 0000000078F8: B7500100
	s_cmp_lt_i32 s80, s81                                      // 0000000078FC: BF045150
	s_cbranch_scc0 label_0B25                                  // 000000007900: BF84F864
	s_waitcnt vmcnt(13) lgkmcnt(0)                             // 000000007904: BF8C007D
	s_barrier                                                  // 000000007908: BF8A0000
	v_mfma_f32_16x16x128_f8f6f4 v[128:131], a[64:71], v[96:103], 0// 00000000790C: D3AD0080 0A02C140
	buffer_load_dword v22, v6, s[16:19], 0 offen               // 000000007914: E0501000 80041606
	buffer_load_dwordx4 a[32:35], v38, s[12:15], 0 offen       // 00000000791C: E05C1000 80832026
	buffer_load_dwordx4 a[36:39], v38, s[12:15], 0 offen offset:1024// 000000007924: E05C1400 80832426
	buffer_load_dwordx4 a[40:43], v39, s[12:15], 0 offen       // 00000000792C: E05C1000 80832827
	buffer_load_dwordx4 a[44:47], v39, s[12:15], 0 offen offset:1024// 000000007934: E05C1400 80832C27
	v_mfma_f32_16x16x128_f8f6f4 v[132:135], a[72:79], v[96:103], 0// 00000000793C: D3AD0084 0A02C148
	ds_read_b32 v64, v5 offset:34560                           // 000000007944: D86C8700 40000005
	ds_read_b32 v65, v5 offset:38912                           // 00000000794C: D86C9800 41000005
	ds_read_b32 v66, v5 offset:34568                           // 000000007954: D86C8708 42000005
	ds_read_b32 v67, v5 offset:38920                           // 00000000795C: D86C9808 43000005
	ds_read_b32 v68, v5 offset:34592                           // 000000007964: D86C8720 44000005
	ds_read_b32 v69, v5 offset:38944                           // 00000000796C: D86C9820 45000005
	ds_read_b32 v70, v5 offset:34600                           // 000000007974: D86C8728 46000005
	ds_read_b32 v71, v5 offset:38952                           // 00000000797C: D86C9828 47000005
	s_waitcnt vmcnt(13)                                        // 000000007984: BF8C0F7D
	v_mfma_f32_16x16x128_f8f6f4 v[136:139], a[80:87], v[96:103], 0// 000000007988: D3AD0088 0A02C150
	buffer_load_dwordx4 a[48:51], v40, s[12:15], 0 offen       // 000000007990: E05C1000 80833028
	buffer_load_dwordx4 a[52:55], v40, s[12:15], 0 offen offset:1024// 000000007998: E05C1400 80833428
	buffer_load_dwordx4 a[56:59], v41, s[12:15], 0 offen       // 0000000079A0: E05C1000 80833829
	buffer_load_dwordx4 a[60:63], v41, s[12:15], 0 offen offset:1024// 0000000079A8: E05C1400 80833C29
	v_mfma_f32_16x16x128_f8f6f4 v[140:143], a[88:95], v[96:103], 0// 0000000079B0: D3AD008C 0A02C158
	ds_write_b64 v4, v[112:113] offset:17152                   // 0000000079B8: D89A4300 00007004
	ds_write_b64 v4, v[114:115] offset:19328                   // 0000000079C0: D89A4B80 00007204
	ds_write_b64 v4, v[116:117] offset:21504                   // 0000000079C8: D89A5400 00007404
	ds_write_b64 v4, v[118:119] offset:23680                   // 0000000079D0: D89A5C80 00007604
	v_mul_f32_dpp v46, v23, v32 row_newbcast:0 row_mask:0xf bank_mask:0xf// 0000000079D8: 0A5C40FA FF015017
	v_mov_b32_e32 v47, v46                                     // 0000000079E0: 7E5E032E
	v_pk_mul_f32 v[128:129], v[46:47], v[128:129]              // 0000000079E4: D3B14080 1803012E
	v_pk_mul_f32 v[130:131], v[46:47], v[130:131]              // 0000000079EC: D3B14082 1803052E
	v_pk_mul_f32 v[132:133], v[46:47], v[132:133]              // 0000000079F4: D3B14084 1803092E
	v_pk_mul_f32 v[134:135], v[46:47], v[134:135]              // 0000000079FC: D3B14086 18030D2E
	v_mul_f32_dpp v46, v23, v32 row_newbcast:1 row_mask:0xf bank_mask:0xf// 000000007A04: 0A5C40FA FF015117
	v_mov_b32_e32 v47, v46                                     // 000000007A0C: 7E5E032E
	v_pk_mul_f32 v[136:137], v[46:47], v[136:137]              // 000000007A10: D3B14088 1803112E
	v_pk_mul_f32 v[138:139], v[46:47], v[138:139]              // 000000007A18: D3B1408A 1803152E
	v_pk_mul_f32 v[140:141], v[46:47], v[140:141]              // 000000007A20: D3B1408C 1803192E
	v_pk_mul_f32 v[142:143], v[46:47], v[142:143]              // 000000007A28: D3B1408E 18031D2E
	s_add_u32 s60, 0x300, s80                                  // 000000007A30: 803C50FF 00000300
	s_cmp_lt_u32 s60, s81                                      // 000000007A38: BF0A513C
	s_cselect_b32 s56, s56, 0                                  // 000000007A3C: 85388038
	s_cselect_b32 s78, s78, 0                                  // 000000007A40: 854E804E
	s_cselect_b32 s79, s79, 0                                  // 000000007A44: 854F804F
	s_add_u32 s12, s56, s12                                    // 000000007A48: 800C0C38
	s_addc_u32 s13, 0, s13                                     // 000000007A4C: 820D0D80
	s_add_u32 s16, s79, s16                                    // 000000007A50: 8010104F
	s_addc_u32 s17, 0, s17                                     // 000000007A54: 82111180
	v_mov_b32_e32 v46, v27                                     // 000000007A58: 7E5C031B
	v_mov_b32_e32 v47, v27                                     // 000000007A5C: 7E5E031B
	v_pk_mul_f32 v[128:129], v[46:47], v[128:129]              // 000000007A60: D3B14080 1803012E
	v_pk_mul_f32 v[130:131], v[46:47], v[130:131]              // 000000007A68: D3B14082 1803052E
	v_pk_mul_f32 v[132:133], v[46:47], v[132:133]              // 000000007A70: D3B14084 1803092E
	v_pk_mul_f32 v[134:135], v[46:47], v[134:135]              // 000000007A78: D3B14086 18030D2E
	v_pk_mul_f32 v[136:137], v[46:47], v[136:137]              // 000000007A80: D3B14088 1803112E
	v_pk_mul_f32 v[138:139], v[46:47], v[138:139]              // 000000007A88: D3B1408A 1803152E
	v_pk_mul_f32 v[140:141], v[46:47], v[140:141]              // 000000007A90: D3B1408C 1803192E
	v_pk_mul_f32 v[142:143], v[46:47], v[142:143]              // 000000007A98: D3B1408E 18031D2E
	v_cvt_pk_bf16_f32 v128, v128, v129                         // 000000007AA0: D2680080 00030380
	v_cvt_pk_bf16_f32 v129, v130, v131                         // 000000007AA8: D2680081 00030782
	v_cvt_pk_bf16_f32 v130, v132, v133                         // 000000007AB0: D2680082 00030B84
	v_cvt_pk_bf16_f32 v131, v134, v135                         // 000000007AB8: D2680083 00030F86
	v_cvt_pk_bf16_f32 v132, v136, v137                         // 000000007AC0: D2680084 00031388
	v_cvt_pk_bf16_f32 v133, v138, v139                         // 000000007AC8: D2680085 0003178A
	v_cvt_pk_bf16_f32 v134, v140, v141                         // 000000007AD0: D2680086 00031B8C
	v_cvt_pk_bf16_f32 v135, v142, v143                         // 000000007AD8: D2680087 00031F8E
	s_cmp_ge_u32 s80, 0x200                                    // 000000007AE0: BF09FF50 00000200
	s_cselect_b32 s59, 0x200, s59                              // 000000007AE8: 853B3BFF 00000200
	s_waitcnt lgkmcnt(0)                                       // 000000007AF0: BF8CC07F
	s_barrier                                                  // 000000007AF4: BF8A0000
	s_setvskip s20, 0                                          // 000000007AF8: BF108014
	global_atomic_pk_add_bf16 v80, v64, s[8:9]                 // 000000007AFC: DD488000 00084050
	s_setvskip 0, 0                                            // 000000007B04: BF108080
	s_setvskip s20, 0                                          // 000000007B08: BF108014
	global_atomic_pk_add_bf16 v80, v65, s[8:9] offset:256      // 000000007B0C: DD488100 00084150
	s_setvskip 0, 0                                            // 000000007B14: BF108080
	s_setvskip s20, 1                                          // 000000007B18: BF108114
	global_atomic_pk_add_bf16 v82, v66, s[8:9]                 // 000000007B1C: DD488000 00084252
	s_setvskip 0, 0                                            // 000000007B24: BF108080
	s_setvskip s20, 1                                          // 000000007B28: BF108114
	global_atomic_pk_add_bf16 v82, v67, s[8:9] offset:256      // 000000007B2C: DD488100 00084352
	s_setvskip 0, 0                                            // 000000007B34: BF108080
	s_setvskip s20, 2                                          // 000000007B38: BF108214
	global_atomic_pk_add_bf16 v84, v68, s[8:9]                 // 000000007B3C: DD488000 00084454
	s_setvskip 0, 0                                            // 000000007B44: BF108080
	s_setvskip s20, 2                                          // 000000007B48: BF108214
	global_atomic_pk_add_bf16 v84, v69, s[8:9] offset:256      // 000000007B4C: DD488100 00084554
	s_setvskip 0, 0                                            // 000000007B54: BF108080
	s_setvskip s20, 3                                          // 000000007B58: BF108314
	global_atomic_pk_add_bf16 v86, v70, s[8:9]                 // 000000007B5C: DD488000 00084656
	s_setvskip 0, 0                                            // 000000007B64: BF108080
	s_setvskip s20, 3                                          // 000000007B68: BF108314
	global_atomic_pk_add_bf16 v86, v71, s[8:9] offset:256      // 000000007B6C: DD488100 00084756
	s_setvskip 0, 0                                            // 000000007B74: BF108080
	s_add_u32 s8, s59, s8                                      // 000000007B78: 8008083B
	s_addc_u32 s9, 0, s9                                       // 000000007B7C: 82090980
	s_addk_i32 s80, 0x100                                      // 000000007B80: B7500100
	s_cmp_lt_i32 s80, s81                                      // 000000007B84: BF045150
	s_cbranch_scc0 label_0B25                                  // 000000007B88: BF84F7C2
	s_branch label_0F97                                        // 000000007B8C: BF82FC33

0000000000007b90 <label_1364>:
	s_cmp_ge_u32 s59, 0                                        // 000000007B90: BF09803B
	s_cselect_b32 s59, 0x200, s59                              // 000000007B94: 853B3BFF 00000200
	s_waitcnt lgkmcnt(0)                                       // 000000007B9C: BF8CC07F
	s_barrier                                                  // 000000007BA0: BF8A0000
	s_cmp_eq_u32 s64, 0x100                                    // 000000007BA4: BF06FF40 00000100
	s_cbranch_scc0 label_13A8                                  // 000000007BAC: BF84003C
	ds_write_b64 v4, v[112:113] offset:17152                   // 000000007BB0: D89A4300 00007004
	ds_write_b64 v4, v[114:115] offset:19328                   // 000000007BB8: D89A4B80 00007204
	ds_write_b64 v4, v[116:117] offset:21504                   // 000000007BC0: D89A5400 00007404
	ds_write_b64 v4, v[118:119] offset:23680                   // 000000007BC8: D89A5C80 00007604
	s_waitcnt lgkmcnt(0)                                       // 000000007BD0: BF8CC07F
	s_barrier                                                  // 000000007BD4: BF8A0000
	ds_read_b32 v64, v5 offset:17152                           // 000000007BD8: D86C4300 40000005
	ds_read_b32 v65, v5 offset:21504                           // 000000007BE0: D86C5400 41000005
	ds_read_b32 v66, v5 offset:17160                           // 000000007BE8: D86C4308 42000005
	ds_read_b32 v67, v5 offset:21512                           // 000000007BF0: D86C5408 43000005
	ds_read_b32 v68, v5 offset:17184                           // 000000007BF8: D86C4320 44000005
	ds_read_b32 v69, v5 offset:21536                           // 000000007C00: D86C5420 45000005
	ds_read_b32 v70, v5 offset:17192                           // 000000007C08: D86C4328 46000005
	ds_read_b32 v71, v5 offset:21544                           // 000000007C10: D86C5428 47000005
	s_waitcnt lgkmcnt(0)                                       // 000000007C18: BF8CC07F
	s_setvskip s20, 0                                          // 000000007C1C: BF108014
	global_atomic_pk_add_bf16 v80, v64, s[8:9]                 // 000000007C20: DD488000 00084050
	s_setvskip 0, 0                                            // 000000007C28: BF108080
	s_setvskip s20, 0                                          // 000000007C2C: BF108014
	global_atomic_pk_add_bf16 v80, v65, s[8:9] offset:256      // 000000007C30: DD488100 00084150
	s_setvskip 0, 0                                            // 000000007C38: BF108080
	s_setvskip s20, 1                                          // 000000007C3C: BF108114
	global_atomic_pk_add_bf16 v82, v66, s[8:9]                 // 000000007C40: DD488000 00084252
	s_setvskip 0, 0                                            // 000000007C48: BF108080
	s_setvskip s20, 1                                          // 000000007C4C: BF108114
	global_atomic_pk_add_bf16 v82, v67, s[8:9] offset:256      // 000000007C50: DD488100 00084352
	s_setvskip 0, 0                                            // 000000007C58: BF108080
	s_setvskip s20, 2                                          // 000000007C5C: BF108214
	global_atomic_pk_add_bf16 v84, v68, s[8:9]                 // 000000007C60: DD488000 00084454
	s_setvskip 0, 0                                            // 000000007C68: BF108080
	s_setvskip s20, 2                                          // 000000007C6C: BF108214
	global_atomic_pk_add_bf16 v84, v69, s[8:9] offset:256      // 000000007C70: DD488100 00084554
	s_setvskip 0, 0                                            // 000000007C78: BF108080
	s_setvskip s20, 3                                          // 000000007C7C: BF108314
	global_atomic_pk_add_bf16 v86, v70, s[8:9]                 // 000000007C80: DD488000 00084656
	s_setvskip 0, 0                                            // 000000007C88: BF108080
	s_setvskip s20, 3                                          // 000000007C8C: BF108314
	global_atomic_pk_add_bf16 v86, v71, s[8:9] offset:256      // 000000007C90: DD488100 00084756
	s_setvskip 0, 0                                            // 000000007C98: BF108080
	s_branch label_1416                                        // 000000007C9C: BF82006E

0000000000007ca0 <label_13A8>:
	ds_read_b32 v64, v5 offset:17152                           // 000000007CA0: D86C4300 40000005
	ds_read_b32 v65, v5 offset:21504                           // 000000007CA8: D86C5400 41000005
	ds_read_b32 v66, v5 offset:17160                           // 000000007CB0: D86C4308 42000005
	ds_read_b32 v67, v5 offset:21512                           // 000000007CB8: D86C5408 43000005
	ds_read_b32 v68, v5 offset:17184                           // 000000007CC0: D86C4320 44000005
	ds_read_b32 v69, v5 offset:21536                           // 000000007CC8: D86C5420 45000005
	ds_read_b32 v70, v5 offset:17192                           // 000000007CD0: D86C4328 46000005
	ds_read_b32 v71, v5 offset:21544                           // 000000007CD8: D86C5428 47000005
	s_waitcnt lgkmcnt(0)                                       // 000000007CE0: BF8CC07F
	s_setvskip s20, 0                                          // 000000007CE4: BF108014
	global_atomic_pk_add_bf16 v80, v64, s[8:9]                 // 000000007CE8: DD488000 00084050
	s_setvskip 0, 0                                            // 000000007CF0: BF108080
	s_setvskip s20, 0                                          // 000000007CF4: BF108014
	global_atomic_pk_add_bf16 v80, v65, s[8:9] offset:256      // 000000007CF8: DD488100 00084150
	s_setvskip 0, 0                                            // 000000007D00: BF108080
	s_setvskip s20, 1                                          // 000000007D04: BF108114
	global_atomic_pk_add_bf16 v82, v66, s[8:9]                 // 000000007D08: DD488000 00084252
	s_setvskip 0, 0                                            // 000000007D10: BF108080
	s_setvskip s20, 1                                          // 000000007D14: BF108114
	global_atomic_pk_add_bf16 v82, v67, s[8:9] offset:256      // 000000007D18: DD488100 00084352
	s_setvskip 0, 0                                            // 000000007D20: BF108080
	s_setvskip s20, 2                                          // 000000007D24: BF108214
	global_atomic_pk_add_bf16 v84, v68, s[8:9]                 // 000000007D28: DD488000 00084454
	s_setvskip 0, 0                                            // 000000007D30: BF108080
	s_setvskip s20, 2                                          // 000000007D34: BF108214
	global_atomic_pk_add_bf16 v84, v69, s[8:9] offset:256      // 000000007D38: DD488100 00084554
	s_setvskip 0, 0                                            // 000000007D40: BF108080
	s_setvskip s20, 3                                          // 000000007D44: BF108314
	global_atomic_pk_add_bf16 v86, v70, s[8:9]                 // 000000007D48: DD488000 00084656
	s_setvskip 0, 0                                            // 000000007D50: BF108080
	s_setvskip s20, 3                                          // 000000007D54: BF108314
	global_atomic_pk_add_bf16 v86, v71, s[8:9] offset:256      // 000000007D58: DD488100 00084756
	s_setvskip 0, 0                                            // 000000007D60: BF108080
	s_add_u32 s8, s59, s8                                      // 000000007D64: 8008083B
	s_addc_u32 s9, 0, s9                                       // 000000007D68: 82090980
	ds_write_b64 v4, v[128:129] offset:34560                   // 000000007D6C: D89A8700 00008004
	ds_write_b64 v4, v[130:131] offset:36736                   // 000000007D74: D89A8F80 00008204
	ds_write_b64 v4, v[132:133] offset:38912                   // 000000007D7C: D89A9800 00008404
	ds_write_b64 v4, v[134:135] offset:41088                   // 000000007D84: D89AA080 00008604
	s_waitcnt lgkmcnt(0)                                       // 000000007D8C: BF8CC07F
	s_barrier                                                  // 000000007D90: BF8A0000
	ds_read_b32 v64, v5 offset:34560                           // 000000007D94: D86C8700 40000005
	ds_read_b32 v65, v5 offset:38912                           // 000000007D9C: D86C9800 41000005
	ds_read_b32 v66, v5 offset:34568                           // 000000007DA4: D86C8708 42000005
	ds_read_b32 v67, v5 offset:38920                           // 000000007DAC: D86C9808 43000005
	ds_read_b32 v68, v5 offset:34592                           // 000000007DB4: D86C8720 44000005
	ds_read_b32 v69, v5 offset:38944                           // 000000007DBC: D86C9820 45000005
	ds_read_b32 v70, v5 offset:34600                           // 000000007DC4: D86C8728 46000005
	ds_read_b32 v71, v5 offset:38952                           // 000000007DCC: D86C9828 47000005
	s_waitcnt lgkmcnt(0)                                       // 000000007DD4: BF8CC07F
	s_setvskip s20, 0                                          // 000000007DD8: BF108014
	global_atomic_pk_add_bf16 v80, v64, s[8:9]                 // 000000007DDC: DD488000 00084050
	s_setvskip 0, 0                                            // 000000007DE4: BF108080
	s_setvskip s20, 0                                          // 000000007DE8: BF108014
	global_atomic_pk_add_bf16 v80, v65, s[8:9] offset:256      // 000000007DEC: DD488100 00084150
	s_setvskip 0, 0                                            // 000000007DF4: BF108080
	s_setvskip s20, 1                                          // 000000007DF8: BF108114
	global_atomic_pk_add_bf16 v82, v66, s[8:9]                 // 000000007DFC: DD488000 00084252
	s_setvskip 0, 0                                            // 000000007E04: BF108080
	s_setvskip s20, 1                                          // 000000007E08: BF108114
	global_atomic_pk_add_bf16 v82, v67, s[8:9] offset:256      // 000000007E0C: DD488100 00084352
	s_setvskip 0, 0                                            // 000000007E14: BF108080
	s_setvskip s20, 2                                          // 000000007E18: BF108214
	global_atomic_pk_add_bf16 v84, v68, s[8:9]                 // 000000007E1C: DD488000 00084454
	s_setvskip 0, 0                                            // 000000007E24: BF108080
	s_setvskip s20, 2                                          // 000000007E28: BF108214
	global_atomic_pk_add_bf16 v84, v69, s[8:9] offset:256      // 000000007E2C: DD488100 00084554
	s_setvskip 0, 0                                            // 000000007E34: BF108080
	s_setvskip s20, 3                                          // 000000007E38: BF108314
	global_atomic_pk_add_bf16 v86, v70, s[8:9]                 // 000000007E3C: DD488000 00084656
	s_setvskip 0, 0                                            // 000000007E44: BF108080
	s_setvskip s20, 3                                          // 000000007E48: BF108314
	global_atomic_pk_add_bf16 v86, v71, s[8:9] offset:256      // 000000007E4C: DD488100 00084756
	s_setvskip 0, 0                                            // 000000007E54: BF108080

0000000000007e58 <label_1416>:
	s_waitcnt vmcnt(0) expcnt(0) lgkmcnt(0)                    // 000000007E58: BF8C0000
	s_endpgm                                                   // 000000007E5C: BF810000
